;; amdgpu-corpus repo=ROCm/rocFFT kind=compiled arch=gfx1100 opt=O3
	.text
	.amdgcn_target "amdgcn-amd-amdhsa--gfx1100"
	.amdhsa_code_object_version 6
	.protected	bluestein_single_fwd_len968_dim1_dp_op_CI_CI ; -- Begin function bluestein_single_fwd_len968_dim1_dp_op_CI_CI
	.globl	bluestein_single_fwd_len968_dim1_dp_op_CI_CI
	.p2align	8
	.type	bluestein_single_fwd_len968_dim1_dp_op_CI_CI,@function
bluestein_single_fwd_len968_dim1_dp_op_CI_CI: ; @bluestein_single_fwd_len968_dim1_dp_op_CI_CI
; %bb.0:
	s_load_b128 s[8:11], s[0:1], 0x28
	v_mul_u32_u24_e32 v1, 0x2e9, v0
	v_mov_b32_e32 v3, 0
	s_mov_b32 s2, exec_lo
	s_delay_alu instid0(VALU_DEP_2) | instskip(NEXT) | instid1(VALU_DEP_1)
	v_lshrrev_b32_e32 v42, 16, v1
	v_lshl_add_u32 v2, s15, 1, v42
	s_waitcnt lgkmcnt(0)
	s_delay_alu instid0(VALU_DEP_1)
	v_cmpx_gt_u64_e64 s[8:9], v[2:3]
	s_cbranch_execz .LBB0_31
; %bb.1:
	s_clause 0x1
	s_load_b128 s[4:7], s[0:1], 0x18
	s_load_b64 s[2:3], s[0:1], 0x0
	v_mul_lo_u16 v1, 0x58, v42
	s_delay_alu instid0(VALU_DEP_1)
	v_sub_nc_u16 v0, v0, v1
	s_waitcnt lgkmcnt(0)
	s_load_b128 s[12:15], s[4:5], 0x0
	s_waitcnt lgkmcnt(0)
	v_mad_u64_u32 v[28:29], null, s14, v2, 0
	v_and_b32_e32 v181, 0xffff, v0
	s_mul_hi_u32 s5, s12, 0x1e4
	s_mul_hi_u32 s9, s12, 0xfffffe74
	s_mul_i32 s8, s13, 0xfffffe74
	s_delay_alu instid0(VALU_DEP_2) | instskip(SKIP_2) | instid1(VALU_DEP_3)
	v_mov_b32_e32 v12, v29
	v_mad_u64_u32 v[30:31], null, s12, v181, 0
	v_lshlrev_b32_e32 v1, 4, v181
	v_mad_u64_u32 v[34:35], null, s15, v2, v[12:13]
	s_delay_alu instid0(VALU_DEP_3)
	v_mov_b32_e32 v16, v31
	s_clause 0x2
	global_load_b128 v[4:7], v1, s[2:3]
	global_load_b128 v[17:20], v1, s[2:3] offset:1408
	global_load_b128 v[21:24], v1, s[2:3] offset:2816
	v_add_co_u32 v188, s4, s2, v1
	s_delay_alu instid0(VALU_DEP_1) | instskip(SKIP_1) | instid1(VALU_DEP_3)
	v_add_co_ci_u32_e64 v3, null, s3, 0, s4
	v_mov_b32_e32 v29, v34
	v_add_co_u32 v8, vcc_lo, 0x1000, v188
	s_delay_alu instid0(VALU_DEP_3)
	v_add_co_ci_u32_e32 v9, vcc_lo, 0, v3, vcc_lo
	v_add_co_u32 v32, vcc_lo, 0x2000, v188
	v_add_co_ci_u32_e32 v33, vcc_lo, 0, v3, vcc_lo
	v_lshlrev_b64 v[28:29], 4, v[28:29]
	v_add_co_u32 v10, vcc_lo, 0x3000, v188
	scratch_store_b32 off, v3, off offset:208 ; 4-byte Folded Spill
	v_add_co_ci_u32_e32 v11, vcc_lo, 0, v3, vcc_lo
	v_mov_b32_e32 v3, v2
	v_add_co_u32 v2, vcc_lo, s10, v28
	s_mul_i32 s3, s13, 0x1e4
	s_mul_i32 s2, s12, 0x1e4
	s_add_i32 s3, s5, s3
	s_sub_i32 s5, s9, s12
	s_mul_i32 s4, s12, 0xfffffe74
	s_add_i32 s5, s5, s8
	global_load_b128 v[131:134], v[8:9], off offset:3648
	s_load_b64 s[8:9], s[0:1], 0x38
	s_waitcnt vmcnt(3)
	scratch_store_b64 off, v[3:4], off offset:24 ; 8-byte Folded Spill
	s_waitcnt vmcnt(2)
	v_mad_u64_u32 v[35:36], null, s13, v181, v[16:17]
	v_add_co_ci_u32_e32 v3, vcc_lo, s11, v29, vcc_lo
	s_lshl_b64 s[10:11], s[2:3], 4
	s_lshl_b64 s[2:3], s[4:5], 4
	s_clause 0x3
	global_load_b128 v[127:130], v[32:33], off offset:960
	global_load_b128 v[12:15], v[32:33], off offset:2368
	;; [unrolled: 1-line block ×4, first 2 shown]
	v_mov_b32_e32 v31, v35
	s_delay_alu instid0(VALU_DEP_1) | instskip(NEXT) | instid1(VALU_DEP_1)
	v_lshlrev_b64 v[30:31], 4, v[30:31]
	v_add_co_u32 v34, vcc_lo, v2, v30
	s_delay_alu instid0(VALU_DEP_2) | instskip(SKIP_1) | instid1(VALU_DEP_3)
	v_add_co_ci_u32_e32 v35, vcc_lo, v3, v31, vcc_lo
	v_and_b32_e32 v2, 1, v42
	v_add_co_u32 v36, vcc_lo, v34, s10
	s_delay_alu instid0(VALU_DEP_3)
	v_add_co_ci_u32_e32 v37, vcc_lo, s11, v35, vcc_lo
	global_load_b128 v[43:46], v[34:35], off
	v_add_co_u32 v38, vcc_lo, v36, s2
	v_add_co_ci_u32_e32 v39, vcc_lo, s3, v37, vcc_lo
	s_clause 0x1
	global_load_b128 v[47:50], v[36:37], off
	global_load_b128 v[51:54], v[38:39], off
	v_add_co_u32 v32, vcc_lo, v38, s10
	v_add_co_ci_u32_e32 v33, vcc_lo, s11, v39, vcc_lo
	scratch_store_b64 off, v[8:9], off offset:48 ; 8-byte Folded Spill
	v_add_co_u32 v34, vcc_lo, v32, s2
	v_add_co_ci_u32_e32 v35, vcc_lo, s3, v33, vcc_lo
	global_load_b128 v[55:58], v[32:33], off
	v_add_co_u32 v36, vcc_lo, v34, s10
	global_load_b128 v[59:62], v[34:35], off
	v_add_co_ci_u32_e32 v37, vcc_lo, s11, v35, vcc_lo
	v_add_co_u32 v32, vcc_lo, v36, s2
	s_delay_alu instid0(VALU_DEP_2) | instskip(NEXT) | instid1(VALU_DEP_2)
	v_add_co_ci_u32_e32 v33, vcc_lo, s3, v37, vcc_lo
	v_add_co_u32 v34, vcc_lo, v32, s10
	global_load_b128 v[63:66], v[36:37], off
	v_add_co_ci_u32_e32 v35, vcc_lo, s11, v33, vcc_lo
	v_add_co_u32 v36, vcc_lo, v34, s2
	global_load_b128 v[67:70], v[32:33], off
	;; [unrolled: 3-line block ×3, first 2 shown]
	v_add_co_ci_u32_e32 v41, vcc_lo, s11, v37, vcc_lo
	global_load_b128 v[29:32], v[8:9], off offset:1536
	global_load_b128 v[75:78], v[36:37], off
	global_load_b128 v[33:36], v[10:11], off offset:1088
	global_load_b128 v[79:82], v[40:41], off
	s_load_b128 s[4:7], s[6:7], 0x0
	v_cmp_eq_u32_e32 vcc_lo, 1, v2
	s_clause 0x1
	scratch_store_b128 off, v[4:7], off offset:32
	scratch_store_b128 off, v[17:20], off offset:56
	s_waitcnt vmcnt(16)
	s_clause 0x1
	scratch_store_b128 off, v[131:134], off offset:144
	scratch_store_b128 off, v[21:24], off offset:72
	v_cndmask_b32_e64 v183, 0, 0x3c80, vcc_lo
	v_cmp_gt_u16_e32 vcc_lo, 44, v0
	s_delay_alu instid0(VALU_DEP_2)
	v_add_nc_u32_e32 v182, v183, v1
	s_waitcnt vmcnt(15)
	scratch_store_b128 off, v[127:130], off offset:128 ; 16-byte Folded Spill
	s_waitcnt vmcnt(14)
	scratch_store_b128 off, v[12:15], off offset:96 ; 16-byte Folded Spill
	;; [unrolled: 2-line block ×4, first 2 shown]
	s_waitcnt vmcnt(11)
	v_mul_f64 v[83:84], v[45:46], v[6:7]
	v_mul_f64 v[85:86], v[43:44], v[6:7]
	s_waitcnt vmcnt(10)
	v_mul_f64 v[87:88], v[49:50], v[133:134]
	v_mul_f64 v[89:90], v[47:48], v[133:134]
	s_waitcnt vmcnt(9)
	v_mul_f64 v[91:92], v[53:54], v[19:20]
	v_mul_f64 v[93:94], v[51:52], v[19:20]
	s_waitcnt vmcnt(8)
	v_mul_f64 v[95:96], v[57:58], v[129:130]
	v_mul_f64 v[97:98], v[55:56], v[129:130]
	s_waitcnt vmcnt(7)
	v_mul_f64 v[99:100], v[61:62], v[23:24]
	v_mul_f64 v[101:102], v[59:60], v[23:24]
	s_waitcnt vmcnt(6)
	v_mul_f64 v[103:104], v[65:66], v[14:15]
	v_mul_f64 v[105:106], v[63:64], v[14:15]
	s_waitcnt vmcnt(5)
	v_mul_f64 v[107:108], v[69:70], v[125:126]
	v_mul_f64 v[109:110], v[67:68], v[125:126]
	v_fma_f64 v[43:44], v[43:44], v[4:5], v[83:84]
	v_fma_f64 v[45:46], v[45:46], v[4:5], -v[85:86]
	s_waitcnt vmcnt(4)
	v_mul_f64 v[111:112], v[73:74], v[27:28]
	s_waitcnt vmcnt(2)
	v_mul_f64 v[115:116], v[77:78], v[31:32]
	v_mul_f64 v[117:118], v[75:76], v[31:32]
	v_mul_f64 v[113:114], v[71:72], v[27:28]
	s_waitcnt vmcnt(0)
	v_mul_f64 v[119:120], v[81:82], v[35:36]
	v_mul_f64 v[121:122], v[79:80], v[35:36]
	v_fma_f64 v[47:48], v[47:48], v[131:132], v[87:88]
	v_fma_f64 v[49:50], v[49:50], v[131:132], -v[89:90]
	v_fma_f64 v[51:52], v[51:52], v[17:18], v[91:92]
	v_fma_f64 v[53:54], v[53:54], v[17:18], -v[93:94]
	s_clause 0x1
	scratch_store_b128 off, v[29:32], off offset:176
	scratch_store_b128 off, v[33:36], off offset:192
	v_fma_f64 v[55:56], v[55:56], v[127:128], v[95:96]
	v_fma_f64 v[57:58], v[57:58], v[127:128], -v[97:98]
	v_fma_f64 v[59:60], v[59:60], v[21:22], v[99:100]
	v_fma_f64 v[61:62], v[61:62], v[21:22], -v[101:102]
	;; [unrolled: 2-line block ×4, first 2 shown]
	ds_store_b128 v182, v[43:46]
	ds_store_b128 v182, v[51:54] offset:1408
	ds_store_b128 v182, v[55:58] offset:9152
	;; [unrolled: 1-line block ×5, first 2 shown]
	v_fma_f64 v[75:76], v[75:76], v[29:30], v[115:116]
	v_fma_f64 v[77:78], v[77:78], v[29:30], -v[117:118]
	v_fma_f64 v[71:72], v[71:72], v[25:26], v[111:112]
	v_fma_f64 v[73:74], v[73:74], v[25:26], -v[113:114]
	;; [unrolled: 2-line block ×3, first 2 shown]
	ds_store_b128 v182, v[47:50] offset:7744
	ds_store_b128 v182, v[75:78] offset:5632
	;; [unrolled: 1-line block ×4, first 2 shown]
	s_and_saveexec_b32 s12, vcc_lo
	s_cbranch_execz .LBB0_3
; %bb.2:
	v_add_co_u32 v40, s2, v40, s2
	s_delay_alu instid0(VALU_DEP_1) | instskip(NEXT) | instid1(VALU_DEP_2)
	v_add_co_ci_u32_e64 v41, s2, s3, v41, s2
	v_add_co_u32 v52, s2, v40, s10
	s_delay_alu instid0(VALU_DEP_1)
	v_add_co_ci_u32_e64 v53, s2, s11, v41, s2
	global_load_b128 v[40:43], v[40:41], off
	scratch_load_b64 v[0:1], off, off offset:48 ; 8-byte Folded Reload
	s_waitcnt vmcnt(0)
	s_clause 0x1
	global_load_b128 v[44:47], v[0:1], off offset:2944
	global_load_b128 v[48:51], v[10:11], off offset:2496
	global_load_b128 v[52:55], v[52:53], off
	s_waitcnt vmcnt(2)
	v_mul_f64 v[56:57], v[42:43], v[46:47]
	v_mul_f64 v[46:47], v[40:41], v[46:47]
	s_waitcnt vmcnt(0)
	v_mul_f64 v[58:59], v[54:55], v[50:51]
	v_mul_f64 v[50:51], v[52:53], v[50:51]
	s_delay_alu instid0(VALU_DEP_4) | instskip(NEXT) | instid1(VALU_DEP_4)
	v_fma_f64 v[40:41], v[40:41], v[44:45], v[56:57]
	v_fma_f64 v[42:43], v[42:43], v[44:45], -v[46:47]
	s_delay_alu instid0(VALU_DEP_4) | instskip(NEXT) | instid1(VALU_DEP_4)
	v_fma_f64 v[44:45], v[52:53], v[48:49], v[58:59]
	v_fma_f64 v[46:47], v[54:55], v[48:49], -v[50:51]
	ds_store_b128 v182, v[40:43] offset:7040
	ds_store_b128 v182, v[44:47] offset:14784
.LBB0_3:
	s_or_b32 exec_lo, exec_lo, s12
	s_waitcnt lgkmcnt(0)
	s_waitcnt_vscnt null, 0x0
	s_barrier
	buffer_gl0_inv
	ds_load_b128 v[40:43], v182
	ds_load_b128 v[44:47], v182 offset:1408
	ds_load_b128 v[80:83], v182 offset:9152
	;; [unrolled: 1-line block ×9, first 2 shown]
                                        ; implicit-def: $vgpr64_vgpr65
                                        ; implicit-def: $vgpr68_vgpr69
	s_and_saveexec_b32 s2, vcc_lo
	s_cbranch_execz .LBB0_5
; %bb.4:
	ds_load_b128 v[64:67], v182 offset:7040
	ds_load_b128 v[68:71], v182 offset:14784
.LBB0_5:
	s_or_b32 exec_lo, exec_lo, s2
	s_waitcnt lgkmcnt(3)
	v_add_f64 v[84:85], v[40:41], -v[84:85]
	v_add_f64 v[86:87], v[42:43], -v[86:87]
	s_waitcnt lgkmcnt(0)
	v_add_f64 v[88:89], v[60:61], -v[48:49]
	v_add_f64 v[90:91], v[62:63], -v[50:51]
	v_add_f64 v[48:49], v[64:65], -v[68:69]
	v_add_f64 v[50:51], v[66:67], -v[70:71]
	v_add_f64 v[80:81], v[44:45], -v[80:81]
	v_add_f64 v[82:83], v[46:47], -v[82:83]
	v_add_f64 v[76:77], v[56:57], -v[76:77]
	v_add_f64 v[78:79], v[58:59], -v[78:79]
	v_add_f64 v[72:73], v[52:53], -v[72:73]
	v_add_f64 v[74:75], v[54:55], -v[74:75]
	s_load_b64 s[0:1], s[0:1], 0x8
	v_lshlrev_b32_e32 v100, 1, v181
	v_add_co_u32 v92, null, 0x1b8, v181
	s_waitcnt lgkmcnt(0)
	s_barrier
	s_delay_alu instid0(VALU_DEP_2)
	v_add_nc_u32_e32 v101, 0xb0, v100
	v_add_nc_u32_e32 v102, 0x160, v100
	;; [unrolled: 1-line block ×4, first 2 shown]
	v_lshl_add_u32 v0, v92, 5, v183
	buffer_gl0_inv
	v_lshl_add_u32 v1, v181, 5, v183
	v_lshl_add_u32 v4, v101, 4, v183
	;; [unrolled: 1-line block ×3, first 2 shown]
	scratch_store_b32 off, v0, off offset:336 ; 4-byte Folded Spill
	v_lshl_add_u32 v2, v103, 4, v183
	scratch_store_b32 off, v1, off offset:212 ; 4-byte Folded Spill
	v_lshl_add_u32 v0, v104, 4, v183
	v_fma_f64 v[68:69], v[40:41], 2.0, -v[84:85]
	v_fma_f64 v[70:71], v[42:43], 2.0, -v[86:87]
	;; [unrolled: 1-line block ×12, first 2 shown]
	ds_store_b128 v1, v[68:71]
	ds_store_b128 v1, v[84:87] offset:16
	ds_store_b128 v4, v[44:47]
	scratch_store_b32 off, v4, off offset:244 ; 4-byte Folded Spill
	ds_store_b128 v4, v[80:83] offset:16
	ds_store_b128 v3, v[56:59]
	scratch_store_b32 off, v3, off offset:224 ; 4-byte Folded Spill
	;; [unrolled: 3-line block ×4, first 2 shown]
	ds_store_b128 v0, v[88:91] offset:16
	s_and_saveexec_b32 s2, vcc_lo
	s_cbranch_execz .LBB0_7
; %bb.6:
	v_lshl_add_u32 v0, v92, 5, v183
	ds_store_b128 v0, v[40:43]
	ds_store_b128 v0, v[48:51] offset:16
.LBB0_7:
	s_or_b32 exec_lo, exec_lo, s2
	s_waitcnt lgkmcnt(0)
	s_waitcnt_vscnt null, 0x0
	s_barrier
	buffer_gl0_inv
	ds_load_b128 v[56:59], v182
	ds_load_b128 v[60:63], v182 offset:1408
	ds_load_b128 v[52:55], v182 offset:9152
	;; [unrolled: 1-line block ×9, first 2 shown]
	s_and_saveexec_b32 s2, vcc_lo
	s_cbranch_execz .LBB0_9
; %bb.8:
	ds_load_b128 v[40:43], v182 offset:7040
	ds_load_b128 v[48:51], v182 offset:14784
.LBB0_9:
	s_or_b32 exec_lo, exec_lo, s2
	v_and_b32_e32 v4, 1, v181
	s_delay_alu instid0(VALU_DEP_1)
	v_lshlrev_b32_e32 v0, 4, v4
	v_and_or_b32 v1, 0x1fc, v101, v4
	v_and_or_b32 v2, 0x3fc, v102, v4
	v_and_or_b32 v3, 0x3fc, v103, v4
	scratch_store_b32 off, v4, off offset:328 ; 4-byte Folded Spill
	global_load_b128 v[44:47], v0, s[0:1]
	v_lshlrev_b32_e32 v0, 1, v92
	v_lshl_add_u32 v5, v1, 4, v183
	v_lshl_add_u32 v2, v2, 4, v183
	;; [unrolled: 1-line block ×3, first 2 shown]
	scratch_store_b32 off, v0, off          ; 4-byte Folded Spill
	v_and_or_b32 v0, 0xfc, v100, v4
	v_and_or_b32 v4, 0x3fc, v104, v4
	s_waitcnt vmcnt(0) lgkmcnt(0)
	s_waitcnt_vscnt null, 0x0
	s_barrier
	buffer_gl0_inv
	v_lshl_add_u32 v6, v0, 4, v183
	v_lshl_add_u32 v0, v4, 4, v183
	scratch_store_b32 off, v6, off offset:296 ; 4-byte Folded Spill
	v_mul_f64 v[93:94], v[90:91], v[46:47]
	v_mul_f64 v[95:96], v[88:89], v[46:47]
	;; [unrolled: 1-line block ×12, first 2 shown]
	v_fma_f64 v[88:89], v[88:89], v[44:45], -v[93:94]
	v_fma_f64 v[90:91], v[90:91], v[44:45], v[95:96]
	v_fma_f64 v[52:53], v[52:53], v[44:45], -v[97:98]
	v_fma_f64 v[54:55], v[54:55], v[44:45], v[105:106]
	v_fma_f64 v[48:49], v[48:49], v[44:45], -v[119:120]
	v_fma_f64 v[50:51], v[50:51], v[44:45], v[121:122]
	v_fma_f64 v[93:94], v[76:77], v[44:45], -v[107:108]
	v_fma_f64 v[95:96], v[78:79], v[44:45], v[109:110]
	v_fma_f64 v[97:98], v[84:85], v[44:45], -v[111:112]
	v_fma_f64 v[105:106], v[86:87], v[44:45], v[113:114]
	v_fma_f64 v[107:108], v[80:81], v[44:45], -v[115:116]
	v_fma_f64 v[109:110], v[82:83], v[44:45], v[117:118]
	v_add_f64 v[76:77], v[56:57], -v[88:89]
	v_add_f64 v[78:79], v[58:59], -v[90:91]
	v_add_f64 v[80:81], v[60:61], -v[52:53]
	v_add_f64 v[82:83], v[62:63], -v[54:55]
	v_add_f64 v[52:53], v[40:41], -v[48:49]
	v_add_f64 v[54:55], v[42:43], -v[50:51]
	v_add_f64 v[84:85], v[68:69], -v[93:94]
	v_add_f64 v[86:87], v[70:71], -v[95:96]
	v_add_f64 v[88:89], v[64:65], -v[97:98]
	v_add_f64 v[90:91], v[66:67], -v[105:106]
	v_add_f64 v[93:94], v[72:73], -v[107:108]
	v_add_f64 v[95:96], v[74:75], -v[109:110]
	v_fma_f64 v[56:57], v[56:57], 2.0, -v[76:77]
	v_fma_f64 v[58:59], v[58:59], 2.0, -v[78:79]
	;; [unrolled: 1-line block ×12, first 2 shown]
	ds_store_b128 v6, v[56:59]
	ds_store_b128 v6, v[76:79] offset:32
	ds_store_b128 v5, v[60:63]
	scratch_store_b32 off, v5, off offset:276 ; 4-byte Folded Spill
	ds_store_b128 v5, v[80:83] offset:32
	ds_store_b128 v2, v[68:71]
	scratch_store_b32 off, v2, off offset:272 ; 4-byte Folded Spill
	ds_store_b128 v2, v[84:87] offset:32
	ds_store_b128 v1, v[64:67]
	scratch_store_b32 off, v1, off offset:268 ; 4-byte Folded Spill
	ds_store_b128 v1, v[88:91] offset:32
	ds_store_b128 v0, v[72:75]
	scratch_store_b32 off, v0, off offset:264 ; 4-byte Folded Spill
	ds_store_b128 v0, v[93:96] offset:32
	s_and_saveexec_b32 s2, vcc_lo
	s_cbranch_execz .LBB0_11
; %bb.10:
	scratch_load_b32 v0, off, off           ; 4-byte Folded Reload
	v_and_b32_e32 v1, 1, v181
	s_waitcnt vmcnt(0)
	s_delay_alu instid0(VALU_DEP_1) | instskip(NEXT) | instid1(VALU_DEP_1)
	v_and_or_b32 v0, 0x3fc, v0, v1
	v_lshl_add_u32 v0, v0, 4, v183
	ds_store_b128 v0, v[48:51]
	ds_store_b128 v0, v[52:55] offset:32
.LBB0_11:
	s_or_b32 exec_lo, exec_lo, s2
	s_waitcnt lgkmcnt(0)
	s_waitcnt_vscnt null, 0x0
	s_barrier
	buffer_gl0_inv
	ds_load_b128 v[60:63], v182
	ds_load_b128 v[64:67], v182 offset:1408
	ds_load_b128 v[76:79], v182 offset:9152
	;; [unrolled: 1-line block ×9, first 2 shown]
	s_and_saveexec_b32 s2, vcc_lo
	s_cbranch_execz .LBB0_13
; %bb.12:
	ds_load_b128 v[48:51], v182 offset:7040
	ds_load_b128 v[52:55], v182 offset:14784
.LBB0_13:
	s_or_b32 exec_lo, exec_lo, s2
	v_and_b32_e32 v4, 3, v181
	s_delay_alu instid0(VALU_DEP_1)
	v_lshlrev_b32_e32 v0, 4, v4
	scratch_store_b32 off, v4, off offset:332 ; 4-byte Folded Spill
	global_load_b128 v[40:43], v0, s[0:1] offset:32
	s_waitcnt vmcnt(0) lgkmcnt(3)
	v_mul_f64 v[96:97], v[94:95], v[42:43]
	v_mul_f64 v[98:99], v[92:93], v[42:43]
	;; [unrolled: 1-line block ×4, first 2 shown]
	s_waitcnt lgkmcnt(1)
	v_mul_f64 v[113:114], v[90:91], v[42:43]
	v_mul_f64 v[115:116], v[88:89], v[42:43]
	;; [unrolled: 1-line block ×4, first 2 shown]
	s_waitcnt lgkmcnt(0)
	v_mul_f64 v[117:118], v[86:87], v[42:43]
	v_mul_f64 v[119:120], v[84:85], v[42:43]
	v_fma_f64 v[92:93], v[92:93], v[40:41], -v[96:97]
	v_fma_f64 v[94:95], v[94:95], v[40:41], v[98:99]
	v_fma_f64 v[96:97], v[76:77], v[40:41], -v[105:106]
	v_fma_f64 v[98:99], v[78:79], v[40:41], v[107:108]
	;; [unrolled: 2-line block ×3, first 2 shown]
	v_mul_f64 v[113:114], v[54:55], v[42:43]
	v_mul_f64 v[115:116], v[52:53], v[42:43]
	v_fma_f64 v[105:106], v[80:81], v[40:41], -v[109:110]
	v_fma_f64 v[107:108], v[82:83], v[40:41], v[111:112]
	v_fma_f64 v[109:110], v[84:85], v[40:41], -v[117:118]
	v_fma_f64 v[111:112], v[86:87], v[40:41], v[119:120]
	v_add_f64 v[76:77], v[60:61], -v[92:93]
	v_add_f64 v[78:79], v[62:63], -v[94:95]
	;; [unrolled: 1-line block ×6, first 2 shown]
	v_fma_f64 v[96:97], v[52:53], v[40:41], -v[113:114]
	v_fma_f64 v[98:99], v[54:55], v[40:41], v[115:116]
	v_add_f64 v[84:85], v[72:73], -v[105:106]
	v_add_f64 v[86:87], v[74:75], -v[107:108]
	;; [unrolled: 1-line block ×4, first 2 shown]
	v_fma_f64 v[52:53], v[60:61], 2.0, -v[76:77]
	v_fma_f64 v[54:55], v[62:63], 2.0, -v[78:79]
	;; [unrolled: 1-line block ×6, first 2 shown]
	v_add_f64 v[0:1], v[48:49], -v[96:97]
	v_add_f64 v[2:3], v[50:51], -v[98:99]
	v_fma_f64 v[64:65], v[72:73], 2.0, -v[84:85]
	v_fma_f64 v[66:67], v[74:75], 2.0, -v[86:87]
	;; [unrolled: 1-line block ×4, first 2 shown]
	s_clause 0x1
	scratch_store_b64 off, v[10:11], off offset:88
	scratch_store_b128 off, v[0:3], off offset:4
	v_and_or_b32 v0, 0xf8, v100, v4
	v_and_or_b32 v1, 0x1f8, v101, v4
	;; [unrolled: 1-line block ×5, first 2 shown]
	v_lshl_add_u32 v6, v0, 4, v183
	v_lshl_add_u32 v5, v1, 4, v183
	;; [unrolled: 1-line block ×5, first 2 shown]
	s_waitcnt_vscnt null, 0x0
	s_barrier
	buffer_gl0_inv
	ds_store_b128 v6, v[52:55]
	scratch_store_b32 off, v6, off offset:316 ; 4-byte Folded Spill
	ds_store_b128 v6, v[76:79] offset:64
	ds_store_b128 v5, v[60:63]
	scratch_store_b32 off, v5, off offset:312 ; 4-byte Folded Spill
	ds_store_b128 v5, v[80:83] offset:64
	;; [unrolled: 3-line block ×5, first 2 shown]
	s_and_saveexec_b32 s2, vcc_lo
	s_cbranch_execz .LBB0_15
; %bb.14:
	s_clause 0x1
	scratch_load_b128 v[2:5], off, off offset:4
	scratch_load_b32 v0, off, off
	v_and_b32_e32 v1, 3, v181
	s_waitcnt vmcnt(1)
	v_fma_f64 v[50:51], v[50:51], 2.0, -v[4:5]
	v_fma_f64 v[48:49], v[48:49], 2.0, -v[2:3]
	s_waitcnt vmcnt(0)
	v_and_or_b32 v0, 0x3f8, v0, v1
	s_delay_alu instid0(VALU_DEP_1)
	v_lshl_add_u32 v0, v0, 4, v183
	ds_store_b128 v0, v[48:51]
	ds_store_b128 v0, v[2:5] offset:64
.LBB0_15:
	s_or_b32 exec_lo, exec_lo, s2
	v_and_b32_e32 v106, 7, v181
	s_waitcnt lgkmcnt(0)
	s_waitcnt_vscnt null, 0x0
	s_barrier
	buffer_gl0_inv
	s_mov_b32 s26, 0xf8bb580b
	v_mad_u64_u32 v[84:85], null, 0xa0, v106, s[0:1]
	s_mov_b32 s22, 0x8eee2c13
	s_mov_b32 s20, 0x43842ef
	;; [unrolled: 1-line block ×6, first 2 shown]
	s_clause 0x3
	global_load_b128 v[4:7], v[84:85], off offset:96
	global_load_b128 v[0:3], v[84:85], off offset:240
	;; [unrolled: 1-line block ×4, first 2 shown]
	ds_load_b128 v[64:67], v182 offset:1408
	ds_load_b128 v[107:110], v182
	ds_load_b128 v[68:71], v182 offset:14080
	s_mov_b32 s21, 0xbfefac9e
	s_mov_b32 s19, 0xbfe82f19
	;; [unrolled: 1-line block ×21, first 2 shown]
	s_waitcnt vmcnt(3) lgkmcnt(2)
	v_mul_f64 v[74:75], v[64:65], v[6:7]
	v_mul_f64 v[72:73], v[66:67], v[6:7]
	s_waitcnt vmcnt(2) lgkmcnt(0)
	v_mul_f64 v[76:77], v[68:69], v[2:3]
	s_clause 0x1
	scratch_store_b128 off, v[4:7], off offset:248
	scratch_store_b128 off, v[0:3], off offset:228
	v_fma_f64 v[121:122], v[66:67], v[4:5], v[74:75]
	v_mul_f64 v[66:67], v[70:71], v[2:3]
	v_fma_f64 v[119:120], v[64:65], v[4:5], -v[72:73]
	v_fma_f64 v[64:65], v[70:71], v[0:1], v[76:77]
	s_delay_alu instid0(VALU_DEP_4) | instskip(NEXT) | instid1(VALU_DEP_4)
	v_add_f64 v[211:212], v[109:110], v[121:122]
	v_fma_f64 v[66:67], v[68:69], v[0:1], -v[66:67]
	ds_load_b128 v[68:71], v182 offset:2816
	ds_load_b128 v[76:79], v182 offset:4224
	s_waitcnt vmcnt(1)
	scratch_store_b128 off, v[8:11], off offset:280 ; 16-byte Folded Spill
	v_add_f64 v[145:146], v[121:122], v[64:65]
	v_add_f64 v[209:210], v[107:108], v[119:120]
	s_waitcnt lgkmcnt(1)
	v_mul_f64 v[72:73], v[70:71], v[10:11]
	v_add_f64 v[125:126], v[119:120], v[66:67]
	s_delay_alu instid0(VALU_DEP_2) | instskip(SKIP_1) | instid1(VALU_DEP_1)
	v_fma_f64 v[102:103], v[68:69], v[8:9], -v[72:73]
	v_mul_f64 v[68:69], v[68:69], v[10:11]
	v_fma_f64 v[104:105], v[70:71], v[8:9], v[68:69]
	ds_load_b128 v[68:71], v182 offset:12672
	ds_load_b128 v[88:91], v182 offset:11264
	s_waitcnt vmcnt(0) lgkmcnt(1)
	v_mul_f64 v[72:73], v[68:69], v[62:63]
	s_delay_alu instid0(VALU_DEP_1) | instskip(SKIP_1) | instid1(VALU_DEP_2)
	v_fma_f64 v[86:87], v[70:71], v[60:61], v[72:73]
	v_mul_f64 v[70:71], v[70:71], v[62:63]
	v_add_f64 v[219:220], v[104:105], v[86:87]
	s_delay_alu instid0(VALU_DEP_2)
	v_fma_f64 v[100:101], v[68:69], v[60:61], -v[70:71]
	s_clause 0x1
	global_load_b128 v[72:75], v[84:85], off offset:128
	global_load_b128 v[68:71], v[84:85], off offset:144
	v_add_f64 v[213:214], v[102:103], v[100:101]
	v_add_f64 v[217:218], v[102:103], -v[100:101]
	s_delay_alu instid0(VALU_DEP_1) | instskip(SKIP_4) | instid1(VALU_DEP_1)
	v_mul_f64 v[221:222], v[217:218], s[22:23]
	v_mul_f64 v[195:196], v[217:218], s[18:19]
	;; [unrolled: 1-line block ×3, first 2 shown]
	s_waitcnt vmcnt(1)
	v_mul_f64 v[80:81], v[78:79], v[74:75]
	v_fma_f64 v[147:148], v[76:77], v[72:73], -v[80:81]
	v_mul_f64 v[76:77], v[76:77], v[74:75]
	s_delay_alu instid0(VALU_DEP_1)
	v_fma_f64 v[149:150], v[78:79], v[72:73], v[76:77]
	s_clause 0x1
	global_load_b128 v[80:83], v[84:85], off offset:208
	global_load_b128 v[76:79], v[84:85], off offset:192
	s_waitcnt vmcnt(1) lgkmcnt(0)
	v_mul_f64 v[92:93], v[88:89], v[82:83]
	s_delay_alu instid0(VALU_DEP_1) | instskip(SKIP_1) | instid1(VALU_DEP_2)
	v_fma_f64 v[151:152], v[90:91], v[80:81], v[92:93]
	v_mul_f64 v[90:91], v[90:91], v[82:83]
	v_add_f64 v[223:224], v[149:150], -v[151:152]
	s_delay_alu instid0(VALU_DEP_2)
	v_fma_f64 v[153:154], v[88:89], v[80:81], -v[90:91]
	ds_load_b128 v[88:91], v182 offset:5632
	ds_load_b128 v[111:114], v182 offset:7040
	v_add_f64 v[231:232], v[149:150], v[151:152]
	s_waitcnt lgkmcnt(1)
	v_mul_f64 v[92:93], v[90:91], v[70:71]
	v_mul_f64 v[227:228], v[223:224], s[20:21]
	v_add_f64 v[225:226], v[147:148], v[153:154]
	v_add_f64 v[229:230], v[147:148], -v[153:154]
	v_mul_f64 v[197:198], v[223:224], s[36:37]
	v_mul_f64 v[0:1], v[223:224], s[30:31]
	v_fma_f64 v[155:156], v[88:89], v[68:69], -v[92:93]
	v_mul_f64 v[88:89], v[88:89], v[70:71]
	v_mul_f64 v[233:234], v[229:230], s[20:21]
	;; [unrolled: 1-line block ×3, first 2 shown]
	v_fma_f64 v[2:3], v[225:226], s[12:13], -v[0:1]
	v_mul_f64 v[4:5], v[229:230], s[30:31]
	v_mul_f64 v[16:17], v[229:230], s[26:27]
	v_fma_f64 v[0:1], v[225:226], s[12:13], v[0:1]
	v_fma_f64 v[157:158], v[90:91], v[68:69], v[88:89]
	ds_load_b128 v[88:91], v182 offset:9856
	ds_load_b128 v[115:118], v182 offset:8448
	s_waitcnt vmcnt(0) lgkmcnt(1)
	v_mul_f64 v[92:93], v[90:91], v[78:79]
	v_fma_f64 v[6:7], v[231:232], s[12:13], v[4:5]
	v_fma_f64 v[18:19], v[231:232], s[24:25], v[16:17]
	v_fma_f64 v[16:17], v[231:232], s[24:25], -v[16:17]
	v_fma_f64 v[4:5], v[231:232], s[12:13], -v[4:5]
	;; [unrolled: 1-line block ×3, first 2 shown]
	v_mul_f64 v[88:89], v[88:89], v[78:79]
	s_delay_alu instid0(VALU_DEP_2) | instskip(NEXT) | instid1(VALU_DEP_2)
	v_add_f64 v[237:238], v[155:156], v[159:160]
	v_fma_f64 v[161:162], v[90:91], v[76:77], v[88:89]
	s_clause 0x1
	global_load_b128 v[92:95], v[84:85], off offset:160
	global_load_b128 v[88:91], v[84:85], off offset:176
	v_add_f64 v[241:242], v[155:156], -v[159:160]
	s_waitcnt vmcnt(0) lgkmcnt(0)
	s_waitcnt_vscnt null, 0x0
	s_barrier
	buffer_gl0_inv
	v_add_f64 v[235:236], v[157:158], -v[161:162]
	v_add_f64 v[243:244], v[157:158], v[161:162]
	v_mul_f64 v[245:246], v[241:242], s[18:19]
	v_mul_f64 v[203:204], v[241:242], s[34:35]
	s_delay_alu instid0(VALU_DEP_4) | instskip(SKIP_3) | instid1(VALU_DEP_2)
	v_mul_f64 v[239:240], v[235:236], s[18:19]
	v_mul_f64 v[201:202], v[235:236], s[34:35]
	;; [unrolled: 1-line block ×4, first 2 shown]
	v_fma_f64 v[10:11], v[237:238], s[24:25], -v[8:9]
	s_delay_alu instid0(VALU_DEP_2) | instskip(SKIP_1) | instid1(VALU_DEP_1)
	v_fma_f64 v[22:23], v[237:238], s[2:3], -v[20:21]
	v_mul_f64 v[84:85], v[113:114], v[94:95]
	v_fma_f64 v[84:85], v[111:112], v[92:93], -v[84:85]
	v_mul_f64 v[111:112], v[111:112], v[94:95]
	s_delay_alu instid0(VALU_DEP_1) | instskip(SKIP_1) | instid1(VALU_DEP_1)
	v_fma_f64 v[163:164], v[113:114], v[92:93], v[111:112]
	v_mul_f64 v[111:112], v[117:118], v[90:91]
	v_fma_f64 v[165:166], v[115:116], v[88:89], -v[111:112]
	v_mul_f64 v[111:112], v[115:116], v[90:91]
	s_delay_alu instid0(VALU_DEP_2) | instskip(NEXT) | instid1(VALU_DEP_2)
	v_add_f64 v[249:250], v[84:85], v[165:166]
	v_fma_f64 v[167:168], v[117:118], v[88:89], v[111:112]
	v_add_f64 v[111:112], v[121:122], -v[64:65]
	v_add_f64 v[253:254], v[84:85], -v[165:166]
	s_delay_alu instid0(VALU_DEP_3) | instskip(NEXT) | instid1(VALU_DEP_3)
	v_add_f64 v[247:248], v[163:164], -v[167:168]
	v_mul_f64 v[113:114], v[111:112], s[26:27]
	v_mul_f64 v[115:116], v[111:112], s[22:23]
	;; [unrolled: 1-line block ×5, first 2 shown]
	v_add_f64 v[189:190], v[163:164], v[167:168]
	v_mul_f64 v[191:192], v[253:254], s[16:17]
	v_mul_f64 v[179:180], v[253:254], s[28:29]
	;; [unrolled: 1-line block ×3, first 2 shown]
	v_fma_f64 v[127:128], v[125:126], s[24:25], -v[113:114]
	v_fma_f64 v[113:114], v[125:126], s[24:25], v[113:114]
	v_fma_f64 v[129:130], v[125:126], s[12:13], -v[115:116]
	v_fma_f64 v[115:116], v[125:126], s[12:13], v[115:116]
	;; [unrolled: 2-line block ×5, first 2 shown]
	v_add_f64 v[125:126], v[119:120], -v[66:67]
	v_mul_f64 v[175:176], v[247:248], s[28:29]
	v_mul_f64 v[12:13], v[247:248], s[18:19]
	;; [unrolled: 1-line block ×3, first 2 shown]
	v_add_f64 v[113:114], v[107:108], v[113:114]
	v_add_f64 v[121:122], v[107:108], v[129:130]
	v_mul_f64 v[137:138], v[125:126], s[26:27]
	v_mul_f64 v[139:140], v[125:126], s[22:23]
	;; [unrolled: 1-line block ×5, first 2 shown]
	v_fma_f64 v[14:15], v[249:250], s[10:11], -v[12:13]
	v_fma_f64 v[26:27], v[249:250], s[12:13], -v[24:25]
	v_fma_f64 v[169:170], v[145:146], s[24:25], v[137:138]
	v_fma_f64 v[137:138], v[145:146], s[24:25], -v[137:138]
	v_fma_f64 v[173:174], v[145:146], s[14:15], v[141:142]
	v_fma_f64 v[171:172], v[145:146], s[12:13], v[139:140]
	;; [unrolled: 1-line block ×3, first 2 shown]
	v_fma_f64 v[125:126], v[145:146], s[2:3], -v[125:126]
	v_fma_f64 v[205:206], v[145:146], s[10:11], v[143:144]
	v_fma_f64 v[139:140], v[145:146], s[12:13], -v[139:140]
	v_fma_f64 v[141:142], v[145:146], s[14:15], -v[141:142]
	;; [unrolled: 1-line block ×3, first 2 shown]
	v_add_f64 v[145:146], v[107:108], v[127:128]
	v_add_f64 v[169:170], v[109:110], v[169:170]
	;; [unrolled: 1-line block ×8, first 2 shown]
	v_add_f64 v[125:126], v[104:105], -v[86:87]
	v_add_f64 v[127:128], v[109:110], v[171:172]
	v_add_f64 v[171:172], v[107:108], v[115:116]
	v_add_f64 v[115:116], v[107:108], v[131:132]
	v_add_f64 v[137:138], v[107:108], v[117:118]
	v_add_f64 v[131:132], v[107:108], v[133:134]
	v_add_f64 v[133:134], v[109:110], v[205:206]
	v_add_f64 v[205:206], v[107:108], v[111:112]
	v_add_f64 v[139:140], v[109:110], v[139:140]
	v_add_f64 v[141:142], v[109:110], v[141:142]
	v_add_f64 v[143:144], v[109:110], v[143:144]
	v_fma_f64 v[109:110], v[219:220], s[12:13], -v[221:222]
	v_fma_f64 v[111:112], v[225:226], s[14:15], v[227:228]
	v_fma_f64 v[117:118], v[225:226], s[2:3], -v[197:198]
	v_mul_f64 v[215:216], v[125:126], s[22:23]
	v_mul_f64 v[193:194], v[125:126], s[18:19]
	;; [unrolled: 1-line block ×3, first 2 shown]
	v_add_f64 v[109:110], v[109:110], v[119:120]
	s_delay_alu instid0(VALU_DEP_4) | instskip(NEXT) | instid1(VALU_DEP_1)
	v_fma_f64 v[107:108], v[213:214], s[12:13], v[215:216]
	v_add_f64 v[107:108], v[107:108], v[113:114]
	v_fma_f64 v[113:114], v[219:220], s[10:11], v[195:196]
	s_delay_alu instid0(VALU_DEP_2) | instskip(SKIP_1) | instid1(VALU_DEP_3)
	v_add_f64 v[107:108], v[111:112], v[107:108]
	v_fma_f64 v[111:112], v[231:232], s[14:15], -v[233:234]
	v_add_f64 v[113:114], v[113:114], v[127:128]
	v_mul_f64 v[127:128], v[217:218], s[28:29]
	s_delay_alu instid0(VALU_DEP_3) | instskip(SKIP_1) | instid1(VALU_DEP_1)
	v_add_f64 v[109:110], v[111:112], v[109:110]
	v_fma_f64 v[111:112], v[237:238], s[10:11], v[239:240]
	v_add_f64 v[107:108], v[111:112], v[107:108]
	v_fma_f64 v[111:112], v[243:244], s[10:11], -v[245:246]
	s_delay_alu instid0(VALU_DEP_1) | instskip(SKIP_1) | instid1(VALU_DEP_1)
	v_add_f64 v[109:110], v[111:112], v[109:110]
	v_fma_f64 v[111:112], v[249:250], s[2:3], v[251:252]
	v_add_f64 v[107:108], v[111:112], v[107:108]
	v_fma_f64 v[111:112], v[189:190], s[2:3], -v[191:192]
	s_delay_alu instid0(VALU_DEP_1) | instskip(SKIP_1) | instid1(VALU_DEP_1)
	v_add_f64 v[109:110], v[111:112], v[109:110]
	v_fma_f64 v[111:112], v[213:214], s[10:11], -v[193:194]
	v_add_f64 v[111:112], v[111:112], v[121:122]
	s_delay_alu instid0(VALU_DEP_1) | instskip(SKIP_1) | instid1(VALU_DEP_1)
	v_add_f64 v[111:112], v[117:118], v[111:112]
	v_fma_f64 v[117:118], v[231:232], s[2:3], v[199:200]
	v_add_f64 v[113:114], v[117:118], v[113:114]
	v_fma_f64 v[117:118], v[237:238], s[14:15], -v[201:202]
	s_delay_alu instid0(VALU_DEP_1) | instskip(SKIP_1) | instid1(VALU_DEP_1)
	v_add_f64 v[111:112], v[117:118], v[111:112]
	v_fma_f64 v[117:118], v[243:244], s[14:15], v[203:204]
	v_add_f64 v[113:114], v[117:118], v[113:114]
	v_fma_f64 v[117:118], v[249:250], s[24:25], -v[175:176]
	;; [unrolled: 5-line block ×3, first 2 shown]
	s_delay_alu instid0(VALU_DEP_1) | instskip(SKIP_1) | instid1(VALU_DEP_2)
	v_add_f64 v[115:116], v[117:118], v[115:116]
	v_fma_f64 v[117:118], v[219:220], s[2:3], v[177:178]
	v_add_f64 v[2:3], v[2:3], v[115:116]
	s_delay_alu instid0(VALU_DEP_2) | instskip(SKIP_1) | instid1(VALU_DEP_3)
	v_add_f64 v[117:118], v[117:118], v[129:130]
	v_mul_f64 v[129:130], v[223:224], s[18:19]
	v_add_f64 v[2:3], v[10:11], v[2:3]
	v_mul_f64 v[10:11], v[241:242], s[26:27]
	s_delay_alu instid0(VALU_DEP_4) | instskip(NEXT) | instid1(VALU_DEP_2)
	v_add_f64 v[6:7], v[6:7], v[117:118]
	v_fma_f64 v[115:116], v[243:244], s[24:25], v[10:11]
	s_delay_alu instid0(VALU_DEP_1) | instskip(SKIP_2) | instid1(VALU_DEP_1)
	v_add_f64 v[6:7], v[115:116], v[6:7]
	v_add_f64 v[115:116], v[14:15], v[2:3]
	v_mul_f64 v[2:3], v[253:254], s[18:19]
	v_fma_f64 v[14:15], v[189:190], s[10:11], v[2:3]
	v_fma_f64 v[2:3], v[189:190], s[10:11], -v[2:3]
	s_delay_alu instid0(VALU_DEP_2) | instskip(SKIP_1) | instid1(VALU_DEP_1)
	v_add_f64 v[117:118], v[14:15], v[6:7]
	v_mul_f64 v[6:7], v[125:126], s[34:35]
	v_fma_f64 v[14:15], v[213:214], s[14:15], -v[6:7]
	v_fma_f64 v[6:7], v[213:214], s[14:15], v[6:7]
	s_delay_alu instid0(VALU_DEP_2) | instskip(SKIP_4) | instid1(VALU_DEP_4)
	v_add_f64 v[14:15], v[14:15], v[131:132]
	v_mul_f64 v[131:132], v[217:218], s[34:35]
	v_mul_f64 v[217:218], v[235:236], s[30:31]
	;; [unrolled: 1-line block ×3, first 2 shown]
	v_add_f64 v[6:7], v[6:7], v[173:174]
	v_fma_f64 v[119:120], v[219:220], s[14:15], v[131:132]
	s_delay_alu instid0(VALU_DEP_1) | instskip(SKIP_2) | instid1(VALU_DEP_3)
	v_add_f64 v[119:120], v[119:120], v[133:134]
	v_mul_f64 v[133:134], v[223:224], s[26:27]
	v_mul_f64 v[223:224], v[241:242], s[30:31]
	v_add_f64 v[18:19], v[18:19], v[119:120]
	s_delay_alu instid0(VALU_DEP_3) | instskip(NEXT) | instid1(VALU_DEP_1)
	v_fma_f64 v[121:122], v[225:226], s[24:25], -v[133:134]
	v_add_f64 v[14:15], v[121:122], v[14:15]
	s_delay_alu instid0(VALU_DEP_1) | instskip(SKIP_1) | instid1(VALU_DEP_1)
	v_add_f64 v[14:15], v[22:23], v[14:15]
	v_mul_f64 v[22:23], v[241:242], s[16:17]
	v_fma_f64 v[119:120], v[243:244], s[2:3], v[22:23]
	s_delay_alu instid0(VALU_DEP_1) | instskip(NEXT) | instid1(VALU_DEP_4)
	v_add_f64 v[18:19], v[119:120], v[18:19]
	v_add_f64 v[119:120], v[26:27], v[14:15]
	v_mul_f64 v[14:15], v[253:254], s[30:31]
	s_delay_alu instid0(VALU_DEP_1) | instskip(SKIP_1) | instid1(VALU_DEP_2)
	v_fma_f64 v[26:27], v[189:190], s[12:13], v[14:15]
	v_fma_f64 v[14:15], v[189:190], s[12:13], -v[14:15]
	v_add_f64 v[121:122], v[26:27], v[18:19]
	v_mul_f64 v[18:19], v[125:126], s[28:29]
	v_fma_f64 v[125:126], v[225:226], s[10:11], -v[129:130]
	s_delay_alu instid0(VALU_DEP_2) | instskip(SKIP_1) | instid1(VALU_DEP_2)
	v_fma_f64 v[26:27], v[213:214], s[24:25], -v[18:19]
	v_fma_f64 v[18:19], v[213:214], s[24:25], v[18:19]
	v_add_f64 v[26:27], v[26:27], v[123:124]
	v_fma_f64 v[123:124], v[219:220], s[24:25], v[127:128]
	s_delay_alu instid0(VALU_DEP_3) | instskip(NEXT) | instid1(VALU_DEP_3)
	v_add_f64 v[18:19], v[18:19], v[205:206]
	v_add_f64 v[26:27], v[125:126], v[26:27]
	s_delay_alu instid0(VALU_DEP_3) | instskip(SKIP_2) | instid1(VALU_DEP_2)
	v_add_f64 v[123:124], v[123:124], v[135:136]
	v_mul_f64 v[135:136], v[229:230], s[18:19]
	v_mul_f64 v[229:230], v[247:248], s[20:21]
	v_fma_f64 v[125:126], v[231:232], s[10:11], v[135:136]
	s_delay_alu instid0(VALU_DEP_1) | instskip(SKIP_1) | instid1(VALU_DEP_1)
	v_add_f64 v[123:124], v[125:126], v[123:124]
	v_fma_f64 v[125:126], v[237:238], s[12:13], -v[217:218]
	v_add_f64 v[26:27], v[125:126], v[26:27]
	v_fma_f64 v[125:126], v[243:244], s[12:13], v[223:224]
	s_delay_alu instid0(VALU_DEP_1) | instskip(SKIP_1) | instid1(VALU_DEP_1)
	v_add_f64 v[125:126], v[125:126], v[123:124]
	v_fma_f64 v[123:124], v[249:250], s[14:15], -v[229:230]
	v_add_f64 v[123:124], v[123:124], v[26:27]
	v_fma_f64 v[26:27], v[189:190], s[14:15], v[235:236]
	s_delay_alu instid0(VALU_DEP_1) | instskip(SKIP_3) | instid1(VALU_DEP_3)
	v_add_f64 v[125:126], v[26:27], v[125:126]
	v_fma_f64 v[26:27], v[219:220], s[24:25], -v[127:128]
	v_fma_f64 v[127:128], v[225:226], s[10:11], v[129:130]
	v_fma_f64 v[129:130], v[189:190], s[14:15], -v[235:236]
	v_add_f64 v[26:27], v[26:27], v[207:208]
	s_delay_alu instid0(VALU_DEP_3) | instskip(SKIP_1) | instid1(VALU_DEP_1)
	v_add_f64 v[18:19], v[127:128], v[18:19]
	v_fma_f64 v[127:128], v[231:232], s[10:11], -v[135:136]
	v_add_f64 v[26:27], v[127:128], v[26:27]
	v_fma_f64 v[127:128], v[237:238], s[12:13], v[217:218]
	s_delay_alu instid0(VALU_DEP_1) | instskip(SKIP_1) | instid1(VALU_DEP_1)
	v_add_f64 v[18:19], v[127:128], v[18:19]
	v_fma_f64 v[127:128], v[243:244], s[12:13], -v[223:224]
	v_add_f64 v[26:27], v[127:128], v[26:27]
	v_fma_f64 v[127:128], v[249:250], s[14:15], v[229:230]
	s_delay_alu instid0(VALU_DEP_2) | instskip(NEXT) | instid1(VALU_DEP_2)
	v_add_f64 v[129:130], v[129:130], v[26:27]
	v_add_f64 v[127:128], v[127:128], v[18:19]
	v_fma_f64 v[18:19], v[219:220], s[14:15], -v[131:132]
	v_fma_f64 v[26:27], v[225:226], s[24:25], v[133:134]
	s_delay_alu instid0(VALU_DEP_2) | instskip(NEXT) | instid1(VALU_DEP_2)
	v_add_f64 v[18:19], v[18:19], v[143:144]
	v_add_f64 v[6:7], v[26:27], v[6:7]
	s_delay_alu instid0(VALU_DEP_2) | instskip(SKIP_1) | instid1(VALU_DEP_1)
	v_add_f64 v[16:17], v[16:17], v[18:19]
	v_fma_f64 v[18:19], v[237:238], s[2:3], v[20:21]
	v_add_f64 v[6:7], v[18:19], v[6:7]
	v_fma_f64 v[18:19], v[243:244], s[2:3], -v[22:23]
	s_delay_alu instid0(VALU_DEP_1) | instskip(SKIP_1) | instid1(VALU_DEP_2)
	v_add_f64 v[16:17], v[18:19], v[16:17]
	v_fma_f64 v[18:19], v[249:250], s[12:13], v[24:25]
	v_add_f64 v[133:134], v[14:15], v[16:17]
	s_delay_alu instid0(VALU_DEP_2) | instskip(SKIP_2) | instid1(VALU_DEP_2)
	v_add_f64 v[131:132], v[18:19], v[6:7]
	v_fma_f64 v[6:7], v[213:214], s[2:3], v[186:187]
	v_fma_f64 v[14:15], v[219:220], s[2:3], -v[177:178]
	v_add_f64 v[6:7], v[6:7], v[137:138]
	s_delay_alu instid0(VALU_DEP_2) | instskip(NEXT) | instid1(VALU_DEP_2)
	v_add_f64 v[14:15], v[14:15], v[141:142]
	v_add_f64 v[0:1], v[0:1], v[6:7]
	v_fma_f64 v[6:7], v[237:238], s[24:25], v[8:9]
	s_delay_alu instid0(VALU_DEP_3) | instskip(SKIP_1) | instid1(VALU_DEP_3)
	v_add_f64 v[4:5], v[4:5], v[14:15]
	v_fma_f64 v[8:9], v[237:238], s[10:11], -v[239:240]
	v_add_f64 v[0:1], v[6:7], v[0:1]
	v_fma_f64 v[6:7], v[243:244], s[24:25], -v[10:11]
	v_fma_f64 v[10:11], v[243:244], s[10:11], v[245:246]
	s_delay_alu instid0(VALU_DEP_2) | instskip(SKIP_1) | instid1(VALU_DEP_2)
	v_add_f64 v[4:5], v[6:7], v[4:5]
	v_fma_f64 v[6:7], v[249:250], s[10:11], v[12:13]
	v_add_f64 v[137:138], v[2:3], v[4:5]
	s_delay_alu instid0(VALU_DEP_2) | instskip(SKIP_4) | instid1(VALU_DEP_4)
	v_add_f64 v[135:136], v[6:7], v[0:1]
	v_fma_f64 v[0:1], v[213:214], s[10:11], v[193:194]
	v_fma_f64 v[2:3], v[219:220], s[10:11], -v[195:196]
	v_fma_f64 v[4:5], v[225:226], s[2:3], v[197:198]
	v_fma_f64 v[6:7], v[189:190], s[24:25], -v[179:180]
	v_add_f64 v[0:1], v[0:1], v[171:172]
	s_delay_alu instid0(VALU_DEP_4) | instskip(NEXT) | instid1(VALU_DEP_2)
	v_add_f64 v[2:3], v[2:3], v[139:140]
	v_add_f64 v[0:1], v[4:5], v[0:1]
	v_fma_f64 v[4:5], v[231:232], s[2:3], -v[199:200]
	s_delay_alu instid0(VALU_DEP_1) | instskip(SKIP_1) | instid1(VALU_DEP_1)
	v_add_f64 v[2:3], v[4:5], v[2:3]
	v_fma_f64 v[4:5], v[237:238], s[14:15], v[201:202]
	v_add_f64 v[0:1], v[4:5], v[0:1]
	v_fma_f64 v[4:5], v[243:244], s[14:15], -v[203:204]
	s_delay_alu instid0(VALU_DEP_1) | instskip(SKIP_1) | instid1(VALU_DEP_2)
	v_add_f64 v[2:3], v[4:5], v[2:3]
	v_fma_f64 v[4:5], v[249:250], s[24:25], v[175:176]
	v_add_f64 v[141:142], v[6:7], v[2:3]
	s_delay_alu instid0(VALU_DEP_2) | instskip(SKIP_4) | instid1(VALU_DEP_4)
	v_add_f64 v[139:140], v[4:5], v[0:1]
	v_fma_f64 v[0:1], v[213:214], s[12:13], -v[215:216]
	v_fma_f64 v[2:3], v[219:220], s[12:13], v[221:222]
	v_fma_f64 v[4:5], v[225:226], s[14:15], -v[227:228]
	v_fma_f64 v[6:7], v[231:232], s[14:15], v[233:234]
	v_add_f64 v[0:1], v[0:1], v[145:146]
	s_delay_alu instid0(VALU_DEP_4) | instskip(NEXT) | instid1(VALU_DEP_2)
	v_add_f64 v[2:3], v[2:3], v[169:170]
	v_add_f64 v[0:1], v[4:5], v[0:1]
	s_delay_alu instid0(VALU_DEP_2) | instskip(SKIP_2) | instid1(VALU_DEP_4)
	v_add_f64 v[2:3], v[6:7], v[2:3]
	v_fma_f64 v[4:5], v[249:250], s[2:3], -v[251:252]
	v_fma_f64 v[6:7], v[189:190], s[2:3], v[191:192]
	v_add_f64 v[0:1], v[8:9], v[0:1]
	s_delay_alu instid0(VALU_DEP_4) | instskip(NEXT) | instid1(VALU_DEP_2)
	v_add_f64 v[2:3], v[10:11], v[2:3]
	v_add_f64 v[143:144], v[4:5], v[0:1]
	s_delay_alu instid0(VALU_DEP_2) | instskip(SKIP_2) | instid1(VALU_DEP_2)
	v_add_f64 v[145:146], v[6:7], v[2:3]
	v_add_f64 v[0:1], v[209:210], v[102:103]
	v_add_f64 v[2:3], v[211:212], v[104:105]
	v_add_f64 v[0:1], v[0:1], v[147:148]
	s_delay_alu instid0(VALU_DEP_2) | instskip(NEXT) | instid1(VALU_DEP_2)
	v_add_f64 v[2:3], v[2:3], v[149:150]
	v_add_f64 v[0:1], v[0:1], v[155:156]
	s_delay_alu instid0(VALU_DEP_2) | instskip(NEXT) | instid1(VALU_DEP_2)
	v_add_f64 v[2:3], v[2:3], v[157:158]
	v_add_f64 v[0:1], v[0:1], v[84:85]
	;; [unrolled: 3-line block ×7, first 2 shown]
	s_delay_alu instid0(VALU_DEP_2) | instskip(SKIP_1) | instid1(VALU_DEP_1)
	v_add_f64 v[86:87], v[2:3], v[64:65]
	v_lshrrev_b32_e32 v0, 3, v181
	v_mul_u32_u24_e32 v0, 0x58, v0
	s_delay_alu instid0(VALU_DEP_1) | instskip(NEXT) | instid1(VALU_DEP_1)
	v_or_b32_e32 v0, v0, v106
	v_lshl_add_u32 v205, v0, 4, v183
	ds_store_b128 v205, v[111:114] offset:256
	ds_store_b128 v205, v[115:118] offset:384
	;; [unrolled: 1-line block ×10, first 2 shown]
	ds_store_b128 v205, v[84:87]
	v_mad_u64_u32 v[124:125], null, 0xa0, v181, s[0:1]
	s_waitcnt lgkmcnt(0)
	s_barrier
	buffer_gl0_inv
	ds_load_b128 v[100:103], v182 offset:1408
	ds_load_b128 v[206:209], v182
	scratch_store_b32 off, v181, off offset:20 ; 4-byte Folded Spill
	s_clause 0x1
	global_load_b128 v[64:67], v[124:125], off offset:1376
	global_load_b128 v[84:87], v[124:125], off offset:1392
	s_waitcnt vmcnt(1) lgkmcnt(1)
	v_mul_f64 v[0:1], v[102:103], v[66:67]
	v_mul_f64 v[2:3], v[100:101], v[66:67]
	s_delay_alu instid0(VALU_DEP_2) | instskip(NEXT) | instid1(VALU_DEP_2)
	v_fma_f64 v[0:1], v[100:101], v[64:65], -v[0:1]
	v_fma_f64 v[2:3], v[102:103], v[64:65], v[2:3]
	s_clause 0x1
	global_load_b128 v[104:107], v[124:125], off offset:1520
	global_load_b128 v[100:103], v[124:125], off offset:1504
	ds_load_b128 v[108:111], v182 offset:14080
	s_waitcnt vmcnt(1) lgkmcnt(0)
	v_mul_f64 v[4:5], v[108:109], v[106:107]
	s_delay_alu instid0(VALU_DEP_1) | instskip(SKIP_1) | instid1(VALU_DEP_2)
	v_fma_f64 v[132:133], v[110:111], v[104:105], v[4:5]
	v_mul_f64 v[4:5], v[110:111], v[106:107]
	v_add_f64 v[174:175], v[2:3], v[132:133]
	s_delay_alu instid0(VALU_DEP_2)
	v_fma_f64 v[134:135], v[108:109], v[104:105], -v[4:5]
	ds_load_b128 v[108:111], v182 offset:2816
	ds_load_b128 v[116:119], v182 offset:4224
	s_waitcnt lgkmcnt(1)
	v_mul_f64 v[4:5], v[110:111], v[86:87]
	v_add_f64 v[14:15], v[0:1], v[134:135]
	s_delay_alu instid0(VALU_DEP_2) | instskip(SKIP_1) | instid1(VALU_DEP_1)
	v_fma_f64 v[140:141], v[108:109], v[84:85], -v[4:5]
	v_mul_f64 v[4:5], v[108:109], v[86:87]
	v_fma_f64 v[142:143], v[110:111], v[84:85], v[4:5]
	ds_load_b128 v[108:111], v182 offset:12672
	ds_load_b128 v[126:129], v182 offset:11264
	s_waitcnt vmcnt(0) lgkmcnt(1)
	v_mul_f64 v[4:5], v[108:109], v[102:103]
	s_delay_alu instid0(VALU_DEP_1) | instskip(SKIP_1) | instid1(VALU_DEP_2)
	v_fma_f64 v[136:137], v[110:111], v[100:101], v[4:5]
	v_mul_f64 v[4:5], v[110:111], v[102:103]
	v_add_f64 v[199:200], v[142:143], v[136:137]
	s_delay_alu instid0(VALU_DEP_2)
	v_fma_f64 v[138:139], v[108:109], v[100:101], -v[4:5]
	s_clause 0x1
	global_load_b128 v[112:115], v[124:125], off offset:1408
	global_load_b128 v[108:111], v[124:125], off offset:1424
	s_waitcnt vmcnt(1)
	v_mul_f64 v[4:5], v[118:119], v[114:115]
	s_delay_alu instid0(VALU_DEP_1) | instskip(SKIP_1) | instid1(VALU_DEP_1)
	v_fma_f64 v[148:149], v[116:117], v[112:113], -v[4:5]
	v_mul_f64 v[4:5], v[116:117], v[114:115]
	v_fma_f64 v[150:151], v[118:119], v[112:113], v[4:5]
	s_clause 0x1
	global_load_b128 v[120:123], v[124:125], off offset:1488
	global_load_b128 v[116:119], v[124:125], off offset:1472
	s_waitcnt vmcnt(1) lgkmcnt(0)
	v_mul_f64 v[4:5], v[126:127], v[122:123]
	s_delay_alu instid0(VALU_DEP_1) | instskip(SKIP_1) | instid1(VALU_DEP_2)
	v_fma_f64 v[144:145], v[128:129], v[120:121], v[4:5]
	v_mul_f64 v[4:5], v[128:129], v[122:123]
	v_add_f64 v[244:245], v[150:151], v[144:145]
	s_delay_alu instid0(VALU_DEP_2)
	v_fma_f64 v[146:147], v[126:127], v[120:121], -v[4:5]
	ds_load_b128 v[126:129], v182 offset:5632
	ds_load_b128 v[158:161], v182 offset:7040
	s_waitcnt lgkmcnt(1)
	v_mul_f64 v[4:5], v[128:129], v[110:111]
	v_add_f64 v[242:243], v[148:149], v[146:147]
	v_add_f64 v[238:239], v[148:149], -v[146:147]
	s_delay_alu instid0(VALU_DEP_3) | instskip(SKIP_1) | instid1(VALU_DEP_3)
	v_fma_f64 v[152:153], v[126:127], v[108:109], -v[4:5]
	v_mul_f64 v[4:5], v[126:127], v[110:111]
	v_mul_f64 v[236:237], v[238:239], s[36:37]
	;; [unrolled: 1-line block ×5, first 2 shown]
	v_fma_f64 v[154:155], v[128:129], v[108:109], v[4:5]
	s_clause 0x1
	global_load_b128 v[128:131], v[124:125], off offset:1440
	global_load_b128 v[124:127], v[124:125], off offset:1456
	ds_load_b128 v[162:165], v182 offset:8448
	ds_load_b128 v[166:169], v182 offset:9856
	v_fma_f64 v[38:39], v[244:245], s[12:13], v[36:37]
	v_fma_f64 v[54:55], v[244:245], s[10:11], v[52:53]
	s_waitcnt vmcnt(1) lgkmcnt(2)
	v_mul_f64 v[4:5], v[160:161], v[130:131]
	s_delay_alu instid0(VALU_DEP_1) | instskip(SKIP_1) | instid1(VALU_DEP_1)
	v_fma_f64 v[156:157], v[158:159], v[128:129], -v[4:5]
	v_mul_f64 v[4:5], v[158:159], v[130:131]
	v_fma_f64 v[158:159], v[160:161], v[128:129], v[4:5]
	s_waitcnt vmcnt(0) lgkmcnt(1)
	v_mul_f64 v[4:5], v[164:165], v[126:127]
	s_delay_alu instid0(VALU_DEP_1) | instskip(SKIP_1) | instid1(VALU_DEP_2)
	v_fma_f64 v[160:161], v[162:163], v[124:125], -v[4:5]
	v_mul_f64 v[4:5], v[162:163], v[126:127]
	v_add_f64 v[28:29], v[156:157], v[160:161]
	s_delay_alu instid0(VALU_DEP_2) | instskip(SKIP_2) | instid1(VALU_DEP_2)
	v_fma_f64 v[162:163], v[164:165], v[124:125], v[4:5]
	s_waitcnt lgkmcnt(0)
	v_mul_f64 v[4:5], v[168:169], v[118:119]
	v_add_f64 v[254:255], v[158:159], -v[162:163]
	s_delay_alu instid0(VALU_DEP_2) | instskip(SKIP_2) | instid1(VALU_DEP_4)
	v_fma_f64 v[164:165], v[166:167], v[116:117], -v[4:5]
	v_mul_f64 v[4:5], v[166:167], v[118:119]
	v_add_f64 v[32:33], v[158:159], v[162:163]
	v_mul_f64 v[30:31], v[254:255], s[28:29]
	s_delay_alu instid0(VALU_DEP_4) | instskip(NEXT) | instid1(VALU_DEP_4)
	v_add_f64 v[246:247], v[152:153], v[164:165]
	v_fma_f64 v[166:167], v[168:169], v[116:117], v[4:5]
	v_add_f64 v[4:5], v[2:3], -v[132:133]
	v_add_f64 v[250:251], v[152:153], -v[164:165]
	v_mul_f64 v[96:97], v[254:255], s[18:19]
	s_delay_alu instid0(VALU_DEP_4) | instskip(NEXT) | instid1(VALU_DEP_4)
	v_add_f64 v[240:241], v[154:155], -v[166:167]
	v_mul_f64 v[6:7], v[4:5], s[26:27]
	v_mul_f64 v[8:9], v[4:5], s[22:23]
	;; [unrolled: 1-line block ×5, first 2 shown]
	v_add_f64 v[252:253], v[154:155], v[166:167]
	v_mul_f64 v[180:181], v[250:251], s[34:35]
	v_mul_f64 v[184:185], v[250:251], s[26:27]
	v_fma_f64 v[98:99], v[28:29], s[10:11], -v[96:97]
	v_mul_f64 v[48:49], v[250:251], s[16:17]
	v_mul_f64 v[56:57], v[250:251], s[30:31]
	;; [unrolled: 1-line block ×3, first 2 shown]
	v_fma_f64 v[16:17], v[14:15], s[24:25], -v[6:7]
	v_fma_f64 v[6:7], v[14:15], s[24:25], v[6:7]
	v_fma_f64 v[18:19], v[14:15], s[12:13], -v[8:9]
	v_fma_f64 v[8:9], v[14:15], s[12:13], v[8:9]
	;; [unrolled: 2-line block ×5, first 2 shown]
	v_add_f64 v[14:15], v[0:1], -v[134:135]
	v_add_f64 v[0:1], v[206:207], v[0:1]
	v_fma_f64 v[50:51], v[252:253], s[2:3], v[48:49]
	v_fma_f64 v[58:59], v[252:253], s[12:13], v[56:57]
	v_add_f64 v[8:9], v[206:207], v[8:9]
	v_add_f64 v[20:21], v[206:207], v[20:21]
	;; [unrolled: 1-line block ×7, first 2 shown]
	v_mul_f64 v[26:27], v[14:15], s[26:27]
	v_mul_f64 v[170:171], v[14:15], s[20:21]
	;; [unrolled: 1-line block ×5, first 2 shown]
	scratch_store_b64 off, v[0:1], off offset:320 ; 8-byte Folded Spill
	v_mul_f64 v[0:1], v[240:241], s[16:17]
	v_fma_f64 v[176:177], v[174:175], s[24:25], v[26:27]
	v_fma_f64 v[191:192], v[174:175], s[14:15], -v[170:171]
	v_fma_f64 v[178:179], v[174:175], s[12:13], v[168:169]
	v_fma_f64 v[186:187], v[174:175], s[12:13], -v[168:169]
	;; [unrolled: 2-line block ×3, first 2 shown]
	v_fma_f64 v[26:27], v[174:175], s[24:25], -v[26:27]
	v_fma_f64 v[189:190], v[174:175], s[14:15], v[170:171]
	v_fma_f64 v[197:198], v[174:175], s[2:3], v[14:15]
	v_add_f64 v[170:171], v[208:209], v[2:3]
	v_add_f64 v[2:3], v[206:207], v[16:17]
	;; [unrolled: 1-line block ×4, first 2 shown]
	v_fma_f64 v[14:15], v[174:175], s[2:3], -v[14:15]
	v_add_f64 v[168:169], v[208:209], v[176:177]
	v_add_f64 v[176:177], v[208:209], v[191:192]
	v_add_f64 v[191:192], v[142:143], -v[136:137]
	v_add_f64 v[16:17], v[208:209], v[178:179]
	v_add_f64 v[18:19], v[208:209], v[186:187]
	;; [unrolled: 1-line block ×9, first 2 shown]
	v_mul_f64 v[195:196], v[191:192], s[18:19]
	s_delay_alu instid0(VALU_DEP_1) | instskip(NEXT) | instid1(VALU_DEP_1)
	v_fma_f64 v[197:198], v[193:194], s[10:11], -v[195:196]
	v_add_f64 v[6:7], v[197:198], v[6:7]
	v_add_f64 v[197:198], v[140:141], -v[138:139]
	s_delay_alu instid0(VALU_DEP_1) | instskip(SKIP_2) | instid1(VALU_DEP_3)
	v_mul_f64 v[201:202], v[197:198], s[18:19]
	v_mul_f64 v[230:231], v[197:198], s[36:37]
	;; [unrolled: 1-line block ×3, first 2 shown]
	v_fma_f64 v[203:204], v[199:200], s[10:11], v[201:202]
	s_delay_alu instid0(VALU_DEP_1) | instskip(SKIP_1) | instid1(VALU_DEP_1)
	v_add_f64 v[16:17], v[203:204], v[16:17]
	v_add_f64 v[203:204], v[150:151], -v[144:145]
	v_mul_f64 v[234:235], v[203:204], s[36:37]
	v_mul_f64 v[232:233], v[203:204], s[30:31]
	;; [unrolled: 1-line block ×4, first 2 shown]
	s_delay_alu instid0(VALU_DEP_4) | instskip(NEXT) | instid1(VALU_DEP_1)
	v_fma_f64 v[206:207], v[242:243], s[2:3], -v[234:235]
	v_add_f64 v[6:7], v[206:207], v[6:7]
	v_fma_f64 v[206:207], v[244:245], s[2:3], v[236:237]
	s_delay_alu instid0(VALU_DEP_1) | instskip(SKIP_1) | instid1(VALU_DEP_1)
	v_add_f64 v[16:17], v[206:207], v[16:17]
	v_fma_f64 v[206:207], v[246:247], s[14:15], -v[248:249]
	v_add_f64 v[6:7], v[206:207], v[6:7]
	v_fma_f64 v[206:207], v[252:253], s[14:15], v[180:181]
	s_delay_alu instid0(VALU_DEP_1) | instskip(SKIP_1) | instid1(VALU_DEP_1)
	v_add_f64 v[16:17], v[206:207], v[16:17]
	v_fma_f64 v[206:207], v[28:29], s[24:25], -v[30:31]
	v_add_f64 v[206:207], v[206:207], v[6:7]
	v_add_f64 v[6:7], v[156:157], -v[160:161]
	s_delay_alu instid0(VALU_DEP_1) | instskip(NEXT) | instid1(VALU_DEP_1)
	v_mul_f64 v[34:35], v[6:7], s[28:29]
	v_fma_f64 v[208:209], v[32:33], s[24:25], v[34:35]
	s_delay_alu instid0(VALU_DEP_1) | instskip(SKIP_1) | instid1(VALU_DEP_1)
	v_add_f64 v[208:209], v[208:209], v[16:17]
	v_mul_f64 v[16:17], v[191:192], s[36:37]
	v_fma_f64 v[210:211], v[193:194], s[2:3], -v[16:17]
	s_delay_alu instid0(VALU_DEP_1) | instskip(SKIP_1) | instid1(VALU_DEP_1)
	v_add_f64 v[20:21], v[210:211], v[20:21]
	v_fma_f64 v[210:211], v[199:200], s[2:3], v[230:231]
	v_add_f64 v[26:27], v[210:211], v[26:27]
	v_fma_f64 v[210:211], v[242:243], s[12:13], -v[232:233]
	s_delay_alu instid0(VALU_DEP_2) | instskip(SKIP_1) | instid1(VALU_DEP_3)
	v_add_f64 v[26:27], v[38:39], v[26:27]
	v_mul_f64 v[38:39], v[240:241], s[26:27]
	v_add_f64 v[20:21], v[210:211], v[20:21]
	s_delay_alu instid0(VALU_DEP_2) | instskip(NEXT) | instid1(VALU_DEP_1)
	v_fma_f64 v[210:211], v[246:247], s[24:25], -v[38:39]
	v_add_f64 v[20:21], v[210:211], v[20:21]
	v_fma_f64 v[210:211], v[252:253], s[24:25], v[184:185]
	s_delay_alu instid0(VALU_DEP_1) | instskip(NEXT) | instid1(VALU_DEP_3)
	v_add_f64 v[26:27], v[210:211], v[26:27]
	v_add_f64 v[210:211], v[98:99], v[20:21]
	v_mul_f64 v[20:21], v[6:7], s[18:19]
	s_delay_alu instid0(VALU_DEP_1) | instskip(NEXT) | instid1(VALU_DEP_1)
	v_fma_f64 v[98:99], v[32:33], s[10:11], v[20:21]
	v_add_f64 v[212:213], v[98:99], v[26:27]
	v_mul_f64 v[26:27], v[191:192], s[34:35]
	s_delay_alu instid0(VALU_DEP_1) | instskip(NEXT) | instid1(VALU_DEP_1)
	v_fma_f64 v[98:99], v[193:194], s[14:15], -v[26:27]
	v_add_f64 v[22:23], v[98:99], v[22:23]
	v_mul_f64 v[98:99], v[197:198], s[34:35]
	s_delay_alu instid0(VALU_DEP_1) | instskip(NEXT) | instid1(VALU_DEP_1)
	v_fma_f64 v[214:215], v[199:200], s[14:15], v[98:99]
	v_add_f64 v[178:179], v[214:215], v[178:179]
	v_fma_f64 v[214:215], v[242:243], s[24:25], -v[226:227]
	s_delay_alu instid0(VALU_DEP_1) | instskip(SKIP_1) | instid1(VALU_DEP_1)
	v_add_f64 v[22:23], v[214:215], v[22:23]
	v_fma_f64 v[214:215], v[244:245], s[24:25], v[228:229]
	v_add_f64 v[178:179], v[214:215], v[178:179]
	v_fma_f64 v[214:215], v[246:247], s[2:3], -v[0:1]
	v_fma_f64 v[0:1], v[246:247], s[2:3], v[0:1]
	s_delay_alu instid0(VALU_DEP_3) | instskip(SKIP_1) | instid1(VALU_DEP_4)
	v_add_f64 v[50:51], v[50:51], v[178:179]
	v_mul_f64 v[178:179], v[254:255], s[30:31]
	v_add_f64 v[22:23], v[214:215], v[22:23]
	s_delay_alu instid0(VALU_DEP_2) | instskip(NEXT) | instid1(VALU_DEP_1)
	v_fma_f64 v[214:215], v[28:29], s[12:13], -v[178:179]
	v_add_f64 v[214:215], v[214:215], v[22:23]
	v_mul_f64 v[22:23], v[6:7], s[30:31]
	s_delay_alu instid0(VALU_DEP_1) | instskip(NEXT) | instid1(VALU_DEP_1)
	v_fma_f64 v[216:217], v[32:33], s[12:13], v[22:23]
	v_add_f64 v[216:217], v[216:217], v[50:51]
	v_mul_f64 v[50:51], v[191:192], s[28:29]
	s_delay_alu instid0(VALU_DEP_1) | instskip(SKIP_1) | instid1(VALU_DEP_2)
	v_fma_f64 v[218:219], v[193:194], s[24:25], -v[50:51]
	v_fma_f64 v[50:51], v[193:194], s[24:25], v[50:51]
	v_add_f64 v[24:25], v[218:219], v[24:25]
	v_fma_f64 v[218:219], v[199:200], s[24:25], v[222:223]
	s_delay_alu instid0(VALU_DEP_3) | instskip(SKIP_1) | instid1(VALU_DEP_3)
	v_add_f64 v[4:5], v[50:51], v[4:5]
	v_fma_f64 v[50:51], v[199:200], s[24:25], -v[222:223]
	v_add_f64 v[189:190], v[218:219], v[189:190]
	v_fma_f64 v[218:219], v[242:243], s[10:11], -v[224:225]
	s_delay_alu instid0(VALU_DEP_3) | instskip(SKIP_1) | instid1(VALU_DEP_4)
	v_add_f64 v[14:15], v[50:51], v[14:15]
	v_fma_f64 v[50:51], v[242:243], s[10:11], v[224:225]
	v_add_f64 v[54:55], v[54:55], v[189:190]
	v_mul_f64 v[189:190], v[240:241], s[30:31]
	v_add_f64 v[24:25], v[218:219], v[24:25]
	s_delay_alu instid0(VALU_DEP_4) | instskip(SKIP_4) | instid1(VALU_DEP_4)
	v_add_f64 v[4:5], v[50:51], v[4:5]
	v_fma_f64 v[50:51], v[244:245], s[10:11], -v[52:53]
	v_add_f64 v[54:55], v[58:59], v[54:55]
	v_fma_f64 v[218:219], v[246:247], s[12:13], -v[189:190]
	v_mul_f64 v[58:59], v[254:255], s[20:21]
	v_add_f64 v[14:15], v[50:51], v[14:15]
	v_fma_f64 v[50:51], v[246:247], s[12:13], v[189:190]
	s_delay_alu instid0(VALU_DEP_4) | instskip(NEXT) | instid1(VALU_DEP_4)
	v_add_f64 v[24:25], v[218:219], v[24:25]
	v_fma_f64 v[218:219], v[28:29], s[14:15], -v[58:59]
	s_delay_alu instid0(VALU_DEP_3) | instskip(SKIP_1) | instid1(VALU_DEP_3)
	v_add_f64 v[4:5], v[50:51], v[4:5]
	v_fma_f64 v[50:51], v[252:253], s[12:13], -v[56:57]
	v_add_f64 v[218:219], v[218:219], v[24:25]
	v_mul_f64 v[24:25], v[6:7], s[20:21]
	v_mul_f64 v[6:7], v[6:7], s[16:17]
	s_delay_alu instid0(VALU_DEP_4) | instskip(SKIP_1) | instid1(VALU_DEP_4)
	v_add_f64 v[14:15], v[50:51], v[14:15]
	v_fma_f64 v[50:51], v[28:29], s[14:15], v[58:59]
	v_fma_f64 v[220:221], v[32:33], s[14:15], v[24:25]
	v_fma_f64 v[24:25], v[32:33], s[14:15], -v[24:25]
	s_delay_alu instid0(VALU_DEP_3) | instskip(SKIP_1) | instid1(VALU_DEP_4)
	v_add_f64 v[222:223], v[50:51], v[4:5]
	v_fma_f64 v[4:5], v[193:194], s[14:15], v[26:27]
	v_add_f64 v[220:221], v[220:221], v[54:55]
	s_delay_alu instid0(VALU_DEP_4) | instskip(SKIP_1) | instid1(VALU_DEP_4)
	v_add_f64 v[224:225], v[24:25], v[14:15]
	v_fma_f64 v[14:15], v[242:243], s[24:25], v[226:227]
	v_add_f64 v[4:5], v[4:5], v[12:13]
	v_fma_f64 v[12:13], v[199:200], s[14:15], -v[98:99]
	s_delay_alu instid0(VALU_DEP_2) | instskip(NEXT) | instid1(VALU_DEP_2)
	v_add_f64 v[4:5], v[14:15], v[4:5]
	v_add_f64 v[12:13], v[12:13], v[186:187]
	v_fma_f64 v[14:15], v[244:245], s[24:25], -v[228:229]
	s_delay_alu instid0(VALU_DEP_3) | instskip(SKIP_1) | instid1(VALU_DEP_3)
	v_add_f64 v[0:1], v[0:1], v[4:5]
	v_fma_f64 v[4:5], v[252:253], s[2:3], -v[48:49]
	v_add_f64 v[12:13], v[14:15], v[12:13]
	v_fma_f64 v[14:15], v[32:33], s[12:13], -v[22:23]
	s_delay_alu instid0(VALU_DEP_2) | instskip(SKIP_1) | instid1(VALU_DEP_2)
	v_add_f64 v[4:5], v[4:5], v[12:13]
	v_fma_f64 v[12:13], v[28:29], s[12:13], v[178:179]
	v_add_f64 v[228:229], v[14:15], v[4:5]
	s_delay_alu instid0(VALU_DEP_2) | instskip(SKIP_3) | instid1(VALU_DEP_3)
	v_add_f64 v[226:227], v[12:13], v[0:1]
	v_fma_f64 v[0:1], v[193:194], s[2:3], v[16:17]
	v_fma_f64 v[4:5], v[199:200], s[2:3], -v[230:231]
	v_fma_f64 v[12:13], v[32:33], s[10:11], -v[20:21]
	v_add_f64 v[0:1], v[0:1], v[10:11]
	v_fma_f64 v[10:11], v[242:243], s[12:13], v[232:233]
	s_delay_alu instid0(VALU_DEP_4) | instskip(NEXT) | instid1(VALU_DEP_2)
	v_add_f64 v[4:5], v[4:5], v[176:177]
	v_add_f64 v[0:1], v[10:11], v[0:1]
	v_fma_f64 v[10:11], v[244:245], s[12:13], -v[36:37]
	s_delay_alu instid0(VALU_DEP_1) | instskip(SKIP_1) | instid1(VALU_DEP_1)
	v_add_f64 v[4:5], v[10:11], v[4:5]
	v_fma_f64 v[10:11], v[246:247], s[24:25], v[38:39]
	v_add_f64 v[0:1], v[10:11], v[0:1]
	v_fma_f64 v[10:11], v[252:253], s[24:25], -v[184:185]
	s_delay_alu instid0(VALU_DEP_1) | instskip(SKIP_1) | instid1(VALU_DEP_2)
	v_add_f64 v[4:5], v[10:11], v[4:5]
	v_fma_f64 v[10:11], v[28:29], s[10:11], v[96:97]
	v_add_f64 v[232:233], v[12:13], v[4:5]
	s_delay_alu instid0(VALU_DEP_2) | instskip(SKIP_3) | instid1(VALU_DEP_3)
	v_add_f64 v[230:231], v[10:11], v[0:1]
	v_fma_f64 v[0:1], v[193:194], s[10:11], v[195:196]
	v_fma_f64 v[4:5], v[199:200], s[10:11], -v[201:202]
	v_fma_f64 v[10:11], v[32:33], s[24:25], -v[34:35]
	v_add_f64 v[0:1], v[0:1], v[8:9]
	v_fma_f64 v[8:9], v[242:243], s[2:3], v[234:235]
	s_delay_alu instid0(VALU_DEP_4) | instskip(NEXT) | instid1(VALU_DEP_2)
	v_add_f64 v[4:5], v[4:5], v[18:19]
	v_add_f64 v[0:1], v[8:9], v[0:1]
	v_fma_f64 v[8:9], v[244:245], s[2:3], -v[236:237]
	s_delay_alu instid0(VALU_DEP_1) | instskip(SKIP_1) | instid1(VALU_DEP_1)
	v_add_f64 v[4:5], v[8:9], v[4:5]
	v_fma_f64 v[8:9], v[246:247], s[14:15], v[248:249]
	v_add_f64 v[0:1], v[8:9], v[0:1]
	v_fma_f64 v[8:9], v[252:253], s[14:15], -v[180:181]
	s_delay_alu instid0(VALU_DEP_1) | instskip(SKIP_1) | instid1(VALU_DEP_2)
	v_add_f64 v[4:5], v[8:9], v[4:5]
	v_fma_f64 v[8:9], v[28:29], s[24:25], v[30:31]
	v_add_f64 v[236:237], v[10:11], v[4:5]
	s_delay_alu instid0(VALU_DEP_2) | instskip(SKIP_2) | instid1(VALU_DEP_2)
	v_add_f64 v[234:235], v[8:9], v[0:1]
	v_mul_f64 v[0:1], v[191:192], s[22:23]
	v_mul_f64 v[10:11], v[203:204], s[20:21]
	v_fma_f64 v[4:5], v[193:194], s[12:13], -v[0:1]
	s_delay_alu instid0(VALU_DEP_2) | instskip(SKIP_1) | instid1(VALU_DEP_3)
	v_fma_f64 v[12:13], v[242:243], s[14:15], -v[10:11]
	v_fma_f64 v[0:1], v[193:194], s[12:13], v[0:1]
	v_add_f64 v[2:3], v[4:5], v[2:3]
	v_mul_f64 v[4:5], v[197:198], s[22:23]
	s_delay_alu instid0(VALU_DEP_3) | instskip(NEXT) | instid1(VALU_DEP_3)
	v_add_f64 v[0:1], v[0:1], v[172:173]
	v_add_f64 v[2:3], v[12:13], v[2:3]
	s_delay_alu instid0(VALU_DEP_3) | instskip(SKIP_1) | instid1(VALU_DEP_2)
	v_fma_f64 v[8:9], v[199:200], s[12:13], v[4:5]
	v_mul_f64 v[12:13], v[238:239], s[20:21]
	v_add_f64 v[8:9], v[8:9], v[168:169]
	s_delay_alu instid0(VALU_DEP_2) | instskip(NEXT) | instid1(VALU_DEP_1)
	v_fma_f64 v[14:15], v[244:245], s[14:15], v[12:13]
	v_add_f64 v[8:9], v[14:15], v[8:9]
	v_mul_f64 v[14:15], v[240:241], s[18:19]
	s_delay_alu instid0(VALU_DEP_1) | instskip(NEXT) | instid1(VALU_DEP_1)
	v_fma_f64 v[16:17], v[246:247], s[10:11], -v[14:15]
	v_add_f64 v[2:3], v[16:17], v[2:3]
	v_mul_f64 v[16:17], v[250:251], s[18:19]
	s_delay_alu instid0(VALU_DEP_1) | instskip(NEXT) | instid1(VALU_DEP_1)
	v_fma_f64 v[18:19], v[252:253], s[10:11], v[16:17]
	v_add_f64 v[8:9], v[18:19], v[8:9]
	v_mul_f64 v[18:19], v[254:255], s[16:17]
	s_delay_alu instid0(VALU_DEP_1) | instskip(NEXT) | instid1(VALU_DEP_1)
	v_fma_f64 v[20:21], v[28:29], s[2:3], -v[18:19]
	v_add_f64 v[238:239], v[20:21], v[2:3]
	v_fma_f64 v[2:3], v[32:33], s[2:3], v[6:7]
	v_fma_f64 v[6:7], v[32:33], s[2:3], -v[6:7]
	s_delay_alu instid0(VALU_DEP_2) | instskip(SKIP_2) | instid1(VALU_DEP_1)
	v_add_f64 v[240:241], v[2:3], v[8:9]
	scratch_load_b64 v[2:3], off, off offset:320 ; 8-byte Folded Reload
	v_add_f64 v[8:9], v[170:171], v[142:143]
	v_add_f64 v[8:9], v[8:9], v[150:151]
	s_delay_alu instid0(VALU_DEP_1) | instskip(NEXT) | instid1(VALU_DEP_1)
	v_add_f64 v[8:9], v[8:9], v[154:155]
	v_add_f64 v[8:9], v[8:9], v[158:159]
	s_delay_alu instid0(VALU_DEP_1) | instskip(NEXT) | instid1(VALU_DEP_1)
	;; [unrolled: 3-line block ×3, first 2 shown]
	v_add_f64 v[8:9], v[8:9], v[144:145]
	v_add_f64 v[8:9], v[8:9], v[136:137]
	s_waitcnt vmcnt(0)
	v_add_f64 v[2:3], v[2:3], v[140:141]
	s_delay_alu instid0(VALU_DEP_1) | instskip(NEXT) | instid1(VALU_DEP_1)
	v_add_f64 v[2:3], v[2:3], v[148:149]
	v_add_f64 v[2:3], v[2:3], v[152:153]
	s_delay_alu instid0(VALU_DEP_1) | instskip(NEXT) | instid1(VALU_DEP_1)
	v_add_f64 v[2:3], v[2:3], v[156:157]
	;; [unrolled: 3-line block ×3, first 2 shown]
	v_add_f64 v[2:3], v[2:3], v[146:147]
	s_delay_alu instid0(VALU_DEP_1) | instskip(SKIP_3) | instid1(VALU_DEP_4)
	v_add_f64 v[2:3], v[2:3], v[138:139]
	v_add_f64 v[138:139], v[8:9], v[132:133]
	v_fma_f64 v[8:9], v[244:245], s[14:15], -v[12:13]
	v_fma_f64 v[12:13], v[252:253], s[10:11], -v[16:17]
	v_add_f64 v[136:137], v[2:3], v[134:135]
	v_fma_f64 v[2:3], v[199:200], s[12:13], -v[4:5]
	ds_store_b128 v182, v[206:209] offset:2816
	ds_store_b128 v182, v[210:213] offset:4224
	;; [unrolled: 1-line block ×9, first 2 shown]
	ds_store_b128 v182, v[136:139]
	v_fma_f64 v[4:5], v[242:243], s[14:15], v[10:11]
	v_fma_f64 v[10:11], v[246:247], s[10:11], v[14:15]
	v_add_f64 v[2:3], v[2:3], v[174:175]
	s_delay_alu instid0(VALU_DEP_3) | instskip(SKIP_1) | instid1(VALU_DEP_3)
	v_add_f64 v[0:1], v[4:5], v[0:1]
	v_fma_f64 v[4:5], v[28:29], s[2:3], v[18:19]
	v_add_f64 v[2:3], v[8:9], v[2:3]
	s_delay_alu instid0(VALU_DEP_3) | instskip(NEXT) | instid1(VALU_DEP_2)
	v_add_f64 v[0:1], v[10:11], v[0:1]
	v_add_f64 v[2:3], v[12:13], v[2:3]
	s_delay_alu instid0(VALU_DEP_2) | instskip(SKIP_1) | instid1(VALU_DEP_3)
	v_add_f64 v[132:133], v[4:5], v[0:1]
	v_add_co_u32 v0, s0, 0x7000, v188
	v_add_f64 v[134:135], v[6:7], v[2:3]
	scratch_load_b32 v6, off, off offset:208 ; 4-byte Folded Reload
	ds_store_b128 v182, v[132:135] offset:14080
	s_waitcnt vmcnt(0) lgkmcnt(0)
	s_waitcnt_vscnt null, 0x0
	s_barrier
	buffer_gl0_inv
	v_add_co_ci_u32_e64 v1, s0, 0, v6, s0
	global_load_b128 v[138:141], v[0:1], off offset:192
	scratch_load_b64 v[230:231], off, off offset:88 ; 8-byte Folded Reload
	s_waitcnt vmcnt(0)
	global_load_b128 v[142:145], v[230:231], off offset:3200
	ds_load_b128 v[146:149], v182
	ds_load_b128 v[150:153], v182 offset:1408
	s_waitcnt vmcnt(0) lgkmcnt(1)
	v_mul_f64 v[0:1], v[148:149], v[144:145]
	v_mul_f64 v[2:3], v[146:147], v[144:145]
	s_delay_alu instid0(VALU_DEP_2) | instskip(SKIP_1) | instid1(VALU_DEP_1)
	v_fma_f64 v[144:145], v[146:147], v[142:143], -v[0:1]
	v_add_co_u32 v0, s0, 0x5000, v188
	v_add_co_ci_u32_e64 v1, s0, 0, v6, s0
	s_clause 0x1
	global_load_b128 v[154:157], v[0:1], off offset:2752
	global_load_b128 v[158:161], v[0:1], off offset:640
	ds_load_b128 v[162:165], v182 offset:7744
	ds_load_b128 v[166:169], v182 offset:5632
	v_fma_f64 v[146:147], v[148:149], v[142:143], v[2:3]
	v_add_co_u32 v136, s0, 0x3c80, v188
	s_delay_alu instid0(VALU_DEP_1) | instskip(SKIP_3) | instid1(VALU_DEP_2)
	v_add_co_ci_u32_e64 v137, s0, 0, v6, s0
	s_waitcnt vmcnt(1) lgkmcnt(1)
	v_mul_f64 v[0:1], v[164:165], v[156:157]
	v_mul_f64 v[2:3], v[162:163], v[156:157]
	v_fma_f64 v[162:163], v[162:163], v[154:155], -v[0:1]
	s_delay_alu instid0(VALU_DEP_2)
	v_fma_f64 v[164:165], v[164:165], v[154:155], v[2:3]
	s_clause 0x1
	global_load_b128 v[154:157], v[136:137], off offset:1408
	global_load_b128 v[170:173], v[136:137], off offset:2816
	s_waitcnt vmcnt(1)
	v_mul_f64 v[0:1], v[152:153], v[156:157]
	v_mul_f64 v[2:3], v[150:151], v[156:157]
	s_delay_alu instid0(VALU_DEP_2) | instskip(SKIP_1) | instid1(VALU_DEP_1)
	v_fma_f64 v[148:149], v[150:151], v[154:155], -v[0:1]
	v_add_co_u32 v0, s0, 0x6000, v188
	v_add_co_ci_u32_e64 v1, s0, 0, v6, s0
	s_delay_alu instid0(VALU_DEP_4)
	v_fma_f64 v[150:151], v[152:153], v[154:155], v[2:3]
	s_clause 0x1
	global_load_b128 v[152:155], v[0:1], off offset:64
	global_load_b128 v[206:209], v[0:1], off offset:1472
	ds_load_b128 v[210:213], v182 offset:9152
	ds_load_b128 v[214:217], v182 offset:10560
	s_waitcnt vmcnt(1) lgkmcnt(1)
	v_mul_f64 v[2:3], v[212:213], v[154:155]
	v_mul_f64 v[4:5], v[210:211], v[154:155]
	s_delay_alu instid0(VALU_DEP_2) | instskip(NEXT) | instid1(VALU_DEP_2)
	v_fma_f64 v[154:155], v[210:211], v[152:153], -v[2:3]
	v_fma_f64 v[156:157], v[212:213], v[152:153], v[4:5]
	ds_load_b128 v[210:213], v182 offset:2816
	ds_load_b128 v[218:221], v182 offset:4224
	s_waitcnt lgkmcnt(1)
	v_mul_f64 v[2:3], v[212:213], v[172:173]
	v_mul_f64 v[4:5], v[210:211], v[172:173]
	s_delay_alu instid0(VALU_DEP_2) | instskip(SKIP_2) | instid1(VALU_DEP_3)
	v_fma_f64 v[172:173], v[210:211], v[170:171], -v[2:3]
	s_waitcnt vmcnt(0)
	v_mul_f64 v[2:3], v[216:217], v[208:209]
	v_fma_f64 v[174:175], v[212:213], v[170:171], v[4:5]
	v_mul_f64 v[4:5], v[214:215], v[208:209]
	s_delay_alu instid0(VALU_DEP_3) | instskip(SKIP_1) | instid1(VALU_DEP_1)
	v_fma_f64 v[208:209], v[214:215], v[206:207], -v[2:3]
	v_add_co_u32 v2, s0, 0x4000, v188
	v_add_co_ci_u32_e64 v3, s0, 0, v6, s0
	s_clause 0x1
	global_load_b128 v[212:215], v[2:3], off offset:3328
	global_load_b128 v[222:225], v[0:1], off offset:2880
	v_fma_f64 v[210:211], v[216:217], v[206:207], v[4:5]
	s_waitcnt vmcnt(1) lgkmcnt(0)
	v_mul_f64 v[0:1], v[220:221], v[214:215]
	v_mul_f64 v[2:3], v[218:219], v[214:215]
	s_delay_alu instid0(VALU_DEP_2) | instskip(NEXT) | instid1(VALU_DEP_2)
	v_fma_f64 v[214:215], v[218:219], v[212:213], -v[0:1]
	v_fma_f64 v[216:217], v[220:221], v[212:213], v[2:3]
	ds_load_b128 v[218:221], v182 offset:11968
	ds_load_b128 v[226:229], v182 offset:13376
	s_waitcnt vmcnt(0) lgkmcnt(1)
	v_mul_f64 v[0:1], v[220:221], v[224:225]
	v_mul_f64 v[2:3], v[218:219], v[224:225]
	s_delay_alu instid0(VALU_DEP_2) | instskip(NEXT) | instid1(VALU_DEP_2)
	v_fma_f64 v[218:219], v[218:219], v[222:223], -v[0:1]
	v_fma_f64 v[220:221], v[220:221], v[222:223], v[2:3]
	v_mul_f64 v[0:1], v[168:169], v[160:161]
	v_mul_f64 v[2:3], v[166:167], v[160:161]
	s_delay_alu instid0(VALU_DEP_2) | instskip(NEXT) | instid1(VALU_DEP_2)
	v_fma_f64 v[166:167], v[166:167], v[158:159], -v[0:1]
	v_fma_f64 v[168:169], v[168:169], v[158:159], v[2:3]
	s_waitcnt lgkmcnt(0)
	v_mul_f64 v[0:1], v[228:229], v[140:141]
	v_mul_f64 v[2:3], v[226:227], v[140:141]
	s_delay_alu instid0(VALU_DEP_2) | instskip(NEXT) | instid1(VALU_DEP_2)
	v_fma_f64 v[140:141], v[226:227], v[138:139], -v[0:1]
	v_fma_f64 v[142:143], v[228:229], v[138:139], v[2:3]
	ds_store_b128 v182, v[144:147]
	ds_store_b128 v182, v[148:151] offset:1408
	ds_store_b128 v182, v[154:157] offset:9152
	;; [unrolled: 1-line block ×9, first 2 shown]
	s_and_saveexec_b32 s1, vcc_lo
	s_cbranch_execz .LBB0_17
; %bb.16:
	v_add_co_u32 v0, s0, 0x1000, v136
	s_delay_alu instid0(VALU_DEP_1) | instskip(SKIP_1) | instid1(VALU_DEP_1)
	v_add_co_ci_u32_e64 v1, s0, 0, v137, s0
	v_add_co_u32 v2, s0, 0x3000, v136
	v_add_co_ci_u32_e64 v3, s0, 0, v137, s0
	s_clause 0x1
	global_load_b128 v[136:139], v[0:1], off offset:2944
	global_load_b128 v[140:143], v[2:3], off offset:2496
	ds_load_b128 v[144:147], v182 offset:7040
	ds_load_b128 v[148:151], v182 offset:14784
	s_waitcnt vmcnt(1) lgkmcnt(1)
	v_mul_f64 v[0:1], v[146:147], v[138:139]
	v_mul_f64 v[2:3], v[144:145], v[138:139]
	s_waitcnt vmcnt(0) lgkmcnt(0)
	v_mul_f64 v[4:5], v[150:151], v[142:143]
	v_mul_f64 v[6:7], v[148:149], v[142:143]
	s_delay_alu instid0(VALU_DEP_4) | instskip(NEXT) | instid1(VALU_DEP_4)
	v_fma_f64 v[142:143], v[144:145], v[136:137], -v[0:1]
	v_fma_f64 v[144:145], v[146:147], v[136:137], v[2:3]
	s_delay_alu instid0(VALU_DEP_4) | instskip(NEXT) | instid1(VALU_DEP_4)
	v_fma_f64 v[136:137], v[148:149], v[140:141], -v[4:5]
	v_fma_f64 v[138:139], v[150:151], v[140:141], v[6:7]
	ds_store_b128 v182, v[142:145] offset:7040
	ds_store_b128 v182, v[136:139] offset:14784
.LBB0_17:
	s_or_b32 exec_lo, exec_lo, s1
	s_waitcnt lgkmcnt(0)
	s_barrier
	buffer_gl0_inv
	ds_load_b128 v[136:139], v182
	ds_load_b128 v[140:143], v182 offset:1408
	ds_load_b128 v[168:171], v182 offset:9152
	;; [unrolled: 1-line block ×9, first 2 shown]
	s_and_saveexec_b32 s0, vcc_lo
	s_cbranch_execz .LBB0_19
; %bb.18:
	ds_load_b128 v[132:135], v182 offset:7040
	ds_load_b128 v[0:3], v182 offset:14784
	s_waitcnt lgkmcnt(0)
	scratch_store_b128 off, v[0:3], off offset:4 ; 16-byte Folded Spill
.LBB0_19:
	s_or_b32 exec_lo, exec_lo, s0
	scratch_load_b128 v[0:3], off, off offset:4 ; 16-byte Folded Reload
	s_waitcnt vmcnt(0) lgkmcnt(0)
	s_waitcnt_vscnt null, 0x0
	s_barrier
	buffer_gl0_inv
	v_add_f64 v[172:173], v[136:137], -v[172:173]
	v_add_f64 v[174:175], v[138:139], -v[174:175]
	;; [unrolled: 1-line block ×10, first 2 shown]
	v_fma_f64 v[136:137], v[136:137], 2.0, -v[172:173]
	v_fma_f64 v[138:139], v[138:139], 2.0, -v[174:175]
	;; [unrolled: 1-line block ×10, first 2 shown]
	v_add_f64 v[96:97], v[132:133], -v[0:1]
	scratch_load_b32 v0, off, off offset:212 ; 4-byte Folded Reload
	v_add_f64 v[98:99], v[134:135], -v[2:3]
	s_waitcnt vmcnt(0)
	ds_store_b128 v0, v[136:139]
	ds_store_b128 v0, v[172:175] offset:16
	scratch_load_b32 v0, off, off offset:244 ; 4-byte Folded Reload
	v_fma_f64 v[132:133], v[132:133], 2.0, -v[96:97]
	v_fma_f64 v[134:135], v[134:135], 2.0, -v[98:99]
	s_waitcnt vmcnt(0)
	ds_store_b128 v0, v[140:143]
	ds_store_b128 v0, v[168:171] offset:16
	scratch_load_b32 v0, off, off offset:224 ; 4-byte Folded Reload
	s_waitcnt vmcnt(0)
	ds_store_b128 v0, v[148:151]
	ds_store_b128 v0, v[164:167] offset:16
	scratch_load_b32 v0, off, off offset:220 ; 4-byte Folded Reload
	;; [unrolled: 4-line block ×3, first 2 shown]
	s_waitcnt vmcnt(0)
	ds_store_b128 v0, v[152:155]
	ds_store_b128 v0, v[156:159] offset:16
	s_and_saveexec_b32 s0, vcc_lo
	s_cbranch_execz .LBB0_21
; %bb.20:
	scratch_load_b32 v0, off, off offset:336 ; 4-byte Folded Reload
	s_waitcnt vmcnt(0)
	ds_store_b128 v0, v[132:135]
	ds_store_b128 v0, v[96:99] offset:16
.LBB0_21:
	s_or_b32 exec_lo, exec_lo, s0
	s_waitcnt lgkmcnt(0)
	s_barrier
	buffer_gl0_inv
	ds_load_b128 v[136:139], v182
	ds_load_b128 v[140:143], v182 offset:1408
	ds_load_b128 v[156:159], v182 offset:9152
	;; [unrolled: 1-line block ×9, first 2 shown]
	s_and_saveexec_b32 s0, vcc_lo
	s_cbranch_execz .LBB0_23
; %bb.22:
	ds_load_b128 v[132:135], v182 offset:7040
	ds_load_b128 v[96:99], v182 offset:14784
.LBB0_23:
	s_or_b32 exec_lo, exec_lo, s0
	s_waitcnt lgkmcnt(3)
	v_mul_f64 v[0:1], v[46:47], v[174:175]
	v_mul_f64 v[4:5], v[46:47], v[158:159]
	;; [unrolled: 1-line block ×3, first 2 shown]
	s_waitcnt lgkmcnt(0)
	s_barrier
	buffer_gl0_inv
	v_mul_f64 v[2:3], v[46:47], v[172:173]
	v_mul_f64 v[8:9], v[46:47], v[162:163]
	;; [unrolled: 1-line block ×9, first 2 shown]
	v_fma_f64 v[0:1], v[44:45], v[172:173], v[0:1]
	v_fma_f64 v[4:5], v[44:45], v[156:157], v[4:5]
	v_fma_f64 v[6:7], v[44:45], v[158:159], -v[6:7]
	v_fma_f64 v[2:3], v[44:45], v[174:175], -v[2:3]
	v_fma_f64 v[8:9], v[44:45], v[160:161], v[8:9]
	v_fma_f64 v[10:11], v[44:45], v[162:163], -v[10:11]
	v_fma_f64 v[16:17], v[44:45], v[164:165], v[16:17]
	;; [unrolled: 2-line block ×4, first 2 shown]
	v_fma_f64 v[22:23], v[44:45], v[98:99], -v[22:23]
	v_add_f64 v[156:157], v[136:137], -v[0:1]
	scratch_load_b32 v0, off, off offset:296 ; 4-byte Folded Reload
	v_add_f64 v[160:161], v[140:141], -v[4:5]
	v_add_f64 v[162:163], v[142:143], -v[6:7]
	;; [unrolled: 1-line block ×11, first 2 shown]
	v_fma_f64 v[136:137], v[136:137], 2.0, -v[156:157]
	v_fma_f64 v[140:141], v[140:141], 2.0, -v[160:161]
	;; [unrolled: 1-line block ×12, first 2 shown]
	s_waitcnt vmcnt(0)
	ds_store_b128 v0, v[136:139]
	ds_store_b128 v0, v[156:159] offset:32
	scratch_load_b32 v0, off, off offset:276 ; 4-byte Folded Reload
	s_waitcnt vmcnt(0)
	ds_store_b128 v0, v[140:143]
	ds_store_b128 v0, v[160:163] offset:32
	scratch_load_b32 v0, off, off offset:272 ; 4-byte Folded Reload
	;; [unrolled: 4-line block ×4, first 2 shown]
	s_waitcnt vmcnt(0)
	ds_store_b128 v0, v[152:155]
	ds_store_b128 v0, v[172:175] offset:32
	s_and_saveexec_b32 s0, vcc_lo
	s_cbranch_execz .LBB0_25
; %bb.24:
	s_clause 0x1
	scratch_load_b32 v0, off, off
	scratch_load_b32 v1, off, off offset:328
	s_waitcnt vmcnt(0)
	v_and_or_b32 v0, 0x3fc, v0, v1
	s_delay_alu instid0(VALU_DEP_1)
	v_lshl_add_u32 v0, v0, 4, v183
	ds_store_b128 v0, v[44:47]
	ds_store_b128 v0, v[96:99] offset:32
.LBB0_25:
	s_or_b32 exec_lo, exec_lo, s0
	s_waitcnt lgkmcnt(0)
	s_barrier
	buffer_gl0_inv
	ds_load_b128 v[136:139], v182
	ds_load_b128 v[140:143], v182 offset:1408
	ds_load_b128 v[152:155], v182 offset:9152
	;; [unrolled: 1-line block ×9, first 2 shown]
	s_and_saveexec_b32 s0, vcc_lo
	s_cbranch_execz .LBB0_27
; %bb.26:
	ds_load_b128 v[44:47], v182 offset:7040
	ds_load_b128 v[96:99], v182 offset:14784
.LBB0_27:
	s_or_b32 exec_lo, exec_lo, s0
	s_waitcnt lgkmcnt(3)
	v_mul_f64 v[0:1], v[42:43], v[170:171]
	v_mul_f64 v[4:5], v[42:43], v[154:155]
	v_mul_f64 v[6:7], v[42:43], v[152:153]
	s_waitcnt lgkmcnt(0)
	s_barrier
	buffer_gl0_inv
	v_mul_f64 v[2:3], v[42:43], v[168:169]
	v_mul_f64 v[8:9], v[42:43], v[158:159]
	;; [unrolled: 1-line block ×7, first 2 shown]
	v_fma_f64 v[0:1], v[40:41], v[168:169], v[0:1]
	v_fma_f64 v[4:5], v[40:41], v[152:153], v[4:5]
	v_fma_f64 v[6:7], v[40:41], v[154:155], -v[6:7]
	v_fma_f64 v[2:3], v[40:41], v[170:171], -v[2:3]
	v_fma_f64 v[8:9], v[40:41], v[156:157], v[8:9]
	v_fma_f64 v[10:11], v[40:41], v[158:159], -v[10:11]
	v_fma_f64 v[16:17], v[40:41], v[160:161], v[16:17]
	;; [unrolled: 2-line block ×3, first 2 shown]
	v_fma_f64 v[14:15], v[40:41], v[166:167], -v[14:15]
	v_add_f64 v[152:153], v[136:137], -v[0:1]
	scratch_load_b32 v0, off, off offset:316 ; 4-byte Folded Reload
	v_add_f64 v[156:157], v[140:141], -v[4:5]
	v_add_f64 v[158:159], v[142:143], -v[6:7]
	v_add_f64 v[154:155], v[138:139], -v[2:3]
	v_add_f64 v[160:161], v[148:149], -v[8:9]
	v_add_f64 v[162:163], v[150:151], -v[10:11]
	v_add_f64 v[168:169], v[132:133], -v[16:17]
	v_add_f64 v[170:171], v[134:135], -v[18:19]
	v_add_f64 v[164:165], v[144:145], -v[12:13]
	v_add_f64 v[166:167], v[146:147], -v[14:15]
	v_fma_f64 v[136:137], v[136:137], 2.0, -v[152:153]
	v_fma_f64 v[140:141], v[140:141], 2.0, -v[156:157]
	;; [unrolled: 1-line block ×10, first 2 shown]
	s_waitcnt vmcnt(0)
	ds_store_b128 v0, v[136:139]
	ds_store_b128 v0, v[152:155] offset:64
	scratch_load_b32 v0, off, off offset:312 ; 4-byte Folded Reload
	s_waitcnt vmcnt(0)
	ds_store_b128 v0, v[140:143]
	ds_store_b128 v0, v[156:159] offset:64
	scratch_load_b32 v0, off, off offset:308 ; 4-byte Folded Reload
	;; [unrolled: 4-line block ×4, first 2 shown]
	s_waitcnt vmcnt(0)
	ds_store_b128 v0, v[132:135]
	ds_store_b128 v0, v[168:171] offset:64
	s_and_saveexec_b32 s0, vcc_lo
	s_cbranch_execz .LBB0_29
; %bb.28:
	v_mul_f64 v[0:1], v[42:43], v[96:97]
	v_mul_f64 v[2:3], v[42:43], v[98:99]
	s_delay_alu instid0(VALU_DEP_2) | instskip(NEXT) | instid1(VALU_DEP_2)
	v_fma_f64 v[0:1], v[40:41], v[98:99], -v[0:1]
	v_fma_f64 v[2:3], v[40:41], v[96:97], v[2:3]
	s_delay_alu instid0(VALU_DEP_2)
	v_add_f64 v[42:43], v[46:47], -v[0:1]
	s_clause 0x1
	scratch_load_b32 v0, off, off
	scratch_load_b32 v1, off, off offset:332
	v_add_f64 v[40:41], v[44:45], -v[2:3]
	v_fma_f64 v[46:47], v[46:47], 2.0, -v[42:43]
	s_delay_alu instid0(VALU_DEP_2) | instskip(SKIP_2) | instid1(VALU_DEP_1)
	v_fma_f64 v[44:45], v[44:45], 2.0, -v[40:41]
	s_waitcnt vmcnt(0)
	v_and_or_b32 v0, 0x3f8, v0, v1
	v_lshl_add_u32 v0, v0, 4, v183
	ds_store_b128 v0, v[44:47]
	ds_store_b128 v0, v[40:43] offset:64
.LBB0_29:
	s_or_b32 exec_lo, exec_lo, s0
	s_waitcnt lgkmcnt(0)
	s_barrier
	buffer_gl0_inv
	ds_load_b128 v[40:43], v182 offset:1408
	ds_load_b128 v[96:99], v182
	scratch_load_b128 v[12:15], off, off offset:248 ; 16-byte Folded Reload
	ds_load_b128 v[44:47], v182 offset:14080
	ds_load_b128 v[132:135], v182 offset:2816
	ds_load_b128 v[136:139], v182 offset:12672
	scratch_load_b128 v[48:51], off, off offset:228 ; 16-byte Folded Reload
	ds_load_b128 v[140:143], v182 offset:4224
	ds_load_b128 v[144:147], v182 offset:11264
	ds_load_b128 v[148:151], v182 offset:9856
	;; [unrolled: 4-line block ×3, first 2 shown]
	s_mov_b32 s0, 0xf8bb580b
	s_mov_b32 s12, 0x8eee2c13
	;; [unrolled: 1-line block ×13, first 2 shown]
	s_waitcnt lgkmcnt(6)
	v_mul_f64 v[10:11], v[62:63], v[136:137]
	s_waitcnt lgkmcnt(5)
	v_mul_f64 v[18:19], v[74:75], v[142:143]
	;; [unrolled: 2-line block ×3, first 2 shown]
	v_mul_f64 v[20:21], v[62:63], v[138:139]
	s_waitcnt lgkmcnt(2)
	v_mul_f64 v[26:27], v[70:71], v[152:153]
	s_waitcnt lgkmcnt(1)
	v_mul_f64 v[32:33], v[94:95], v[158:159]
	v_mul_f64 v[34:35], v[94:95], v[156:157]
	v_mul_f64 v[28:29], v[78:79], v[150:151]
	v_mul_f64 v[22:23], v[70:71], v[154:155]
	v_mul_f64 v[30:31], v[78:79], v[148:149]
	s_mov_b32 s26, 0x7f775887
	s_waitcnt lgkmcnt(0)
	v_mul_f64 v[36:37], v[90:91], v[52:53]
	s_mov_b32 s25, 0xbfe82f19
	s_mov_b32 s27, 0xbfe4f49e
	;; [unrolled: 1-line block ×15, first 2 shown]
	s_waitcnt vmcnt(0)
	s_barrier
	buffer_gl0_inv
	v_mul_f64 v[0:1], v[14:15], v[42:43]
	v_mul_f64 v[2:3], v[14:15], v[40:41]
	;; [unrolled: 1-line block ×7, first 2 shown]
	v_fma_f64 v[0:1], v[12:13], v[40:41], v[0:1]
	v_fma_f64 v[2:3], v[12:13], v[42:43], -v[2:3]
	v_mul_f64 v[12:13], v[74:75], v[140:141]
	v_fma_f64 v[42:43], v[60:61], v[138:139], -v[10:11]
	v_fma_f64 v[6:7], v[56:57], v[132:133], v[6:7]
	v_fma_f64 v[8:9], v[56:57], v[134:135], -v[8:9]
	v_fma_f64 v[40:41], v[48:49], v[46:47], -v[4:5]
	;; [unrolled: 1-line block ×3, first 2 shown]
	v_fma_f64 v[44:45], v[48:49], v[44:45], v[16:17]
	v_fma_f64 v[14:15], v[72:73], v[140:141], v[18:19]
	;; [unrolled: 1-line block ×3, first 2 shown]
	v_fma_f64 v[18:19], v[68:69], v[154:155], -v[26:27]
	v_fma_f64 v[24:25], v[92:93], v[156:157], v[32:33]
	v_fma_f64 v[26:27], v[92:93], v[158:159], -v[34:35]
	v_mul_f64 v[4:5], v[90:91], v[54:55]
	v_fma_f64 v[46:47], v[60:61], v[136:137], v[20:21]
	v_fma_f64 v[20:21], v[76:77], v[148:149], v[28:29]
	;; [unrolled: 1-line block ×3, first 2 shown]
	v_fma_f64 v[22:23], v[76:77], v[150:151], -v[30:31]
	v_fma_f64 v[30:31], v[88:89], v[54:55], -v[36:37]
	v_add_f64 v[10:11], v[96:97], v[0:1]
	v_add_f64 v[38:39], v[98:99], v[2:3]
	v_fma_f64 v[12:13], v[72:73], v[142:143], -v[12:13]
	v_add_f64 v[32:33], v[8:9], -v[42:43]
	v_add_f64 v[34:35], v[8:9], v[42:43]
	v_add_f64 v[28:29], v[2:3], -v[40:41]
	v_add_f64 v[2:3], v[2:3], v[40:41]
	v_add_f64 v[56:57], v[14:15], v[48:49]
	v_add_f64 v[58:59], v[14:15], -v[48:49]
	v_fma_f64 v[4:5], v[88:89], v[52:53], v[4:5]
	v_add_f64 v[52:53], v[0:1], v[44:45]
	v_add_f64 v[0:1], v[0:1], -v[44:45]
	v_add_f64 v[54:55], v[6:7], v[46:47]
	v_add_f64 v[60:61], v[16:17], v[20:21]
	v_add_f64 v[62:63], v[18:19], v[22:23]
	v_add_f64 v[68:69], v[18:19], -v[22:23]
	v_add_f64 v[70:71], v[16:17], -v[20:21]
	v_add_f64 v[78:79], v[26:27], v[30:31]
	v_add_f64 v[90:91], v[26:27], -v[30:31]
	v_add_f64 v[10:11], v[10:11], v[6:7]
	v_add_f64 v[8:9], v[38:39], v[8:9]
	v_add_f64 v[36:37], v[12:13], -v[50:51]
	v_add_f64 v[38:39], v[12:13], v[50:51]
	v_add_f64 v[6:7], v[6:7], -v[46:47]
	v_mul_f64 v[136:137], v[32:33], s[12:13]
	v_mul_f64 v[138:139], v[34:35], s[26:27]
	;; [unrolled: 1-line block ×16, first 2 shown]
	v_add_f64 v[76:77], v[24:25], v[4:5]
	v_add_f64 v[88:89], v[24:25], -v[4:5]
	v_mul_f64 v[164:165], v[68:69], s[24:25]
	v_mul_f64 v[166:167], v[62:63], s[26:27]
	v_add_f64 v[10:11], v[10:11], v[14:15]
	v_add_f64 v[8:9], v[8:9], v[12:13]
	v_mul_f64 v[12:13], v[32:33], s[24:25]
	v_mul_f64 v[14:15], v[34:35], s[14:15]
	;; [unrolled: 1-line block ×5, first 2 shown]
	v_fma_f64 v[168:169], v[52:53], s[2:3], v[72:73]
	v_fma_f64 v[72:73], v[52:53], s[2:3], -v[72:73]
	v_fma_f64 v[172:173], v[52:53], s[14:15], v[80:81]
	v_fma_f64 v[174:175], v[0:1], s[16:17], v[82:83]
	;; [unrolled: 1-line block ×8, first 2 shown]
	v_fma_f64 v[80:81], v[52:53], s[14:15], -v[80:81]
	v_fma_f64 v[82:83], v[0:1], s[12:13], v[82:83]
	v_fma_f64 v[94:95], v[0:1], s[18:19], v[94:95]
	v_fma_f64 v[132:133], v[52:53], s[26:27], -v[132:133]
	v_fma_f64 v[92:93], v[52:53], s[20:21], -v[92:93]
	v_mul_f64 v[150:151], v[38:39], s[20:21]
	v_mul_f64 v[152:153], v[36:37], s[36:37]
	;; [unrolled: 1-line block ×9, first 2 shown]
	v_fma_f64 v[187:188], v[6:7], s[28:29], v[138:139]
	v_fma_f64 v[189:190], v[54:55], s[34:35], v[140:141]
	;; [unrolled: 1-line block ×7, first 2 shown]
	v_add_f64 v[10:11], v[10:11], v[16:17]
	v_add_f64 v[8:9], v[8:9], v[18:19]
	v_fma_f64 v[16:17], v[0:1], s[24:25], v[134:135]
	v_fma_f64 v[18:19], v[52:53], s[34:35], v[28:29]
	;; [unrolled: 1-line block ×3, first 2 shown]
	v_fma_f64 v[28:29], v[52:53], s[34:35], -v[28:29]
	v_fma_f64 v[0:1], v[0:1], s[30:31], v[2:3]
	v_fma_f64 v[2:3], v[54:55], s[14:15], v[136:137]
	v_fma_f64 v[136:137], v[54:55], s[14:15], -v[136:137]
	v_fma_f64 v[185:186], v[54:55], s[26:27], v[12:13]
	v_add_f64 v[168:169], v[96:97], v[168:169]
	v_add_f64 v[72:73], v[96:97], v[72:73]
	;; [unrolled: 1-line block ×4, first 2 shown]
	v_fma_f64 v[52:53], v[6:7], s[16:17], v[14:15]
	v_fma_f64 v[14:15], v[6:7], s[12:13], v[14:15]
	v_add_f64 v[74:75], v[98:99], v[74:75]
	v_add_f64 v[176:177], v[96:97], v[176:177]
	;; [unrolled: 1-line block ×5, first 2 shown]
	v_fma_f64 v[12:13], v[54:55], s[26:27], -v[12:13]
	v_fma_f64 v[197:198], v[54:55], s[2:3], v[32:33]
	v_fma_f64 v[199:200], v[6:7], s[0:1], v[34:35]
	v_add_f64 v[80:81], v[96:97], v[80:81]
	v_fma_f64 v[146:147], v[6:7], s[22:23], v[146:147]
	v_fma_f64 v[32:33], v[54:55], s[2:3], -v[32:33]
	v_fma_f64 v[6:7], v[6:7], s[10:11], v[34:35]
	v_fma_f64 v[144:145], v[54:55], s[20:21], -v[144:145]
	v_add_f64 v[132:133], v[96:97], v[132:133]
	v_fma_f64 v[140:141], v[54:55], s[34:35], -v[140:141]
	v_add_f64 v[92:93], v[96:97], v[92:93]
	v_add_f64 v[94:95], v[98:99], v[94:95]
	;; [unrolled: 1-line block ×4, first 2 shown]
	v_fma_f64 v[34:35], v[56:57], s[20:21], v[148:149]
	v_fma_f64 v[54:55], v[58:59], s[22:23], v[150:151]
	v_fma_f64 v[148:149], v[56:57], s[20:21], -v[148:149]
	v_add_f64 v[10:11], v[10:11], v[24:25]
	v_add_f64 v[8:9], v[8:9], v[26:27]
	v_add_f64 v[16:17], v[98:99], v[16:17]
	v_add_f64 v[18:19], v[96:97], v[18:19]
	v_add_f64 v[134:135], v[98:99], v[134:135]
	v_add_f64 v[28:29], v[96:97], v[28:29]
	v_add_f64 v[0:1], v[98:99], v[0:1]
	v_fma_f64 v[150:151], v[58:59], s[18:19], v[150:151]
	v_fma_f64 v[201:202], v[56:57], s[34:35], v[152:153]
	v_fma_f64 v[203:204], v[58:59], s[30:31], v[154:155]
	v_fma_f64 v[152:153], v[56:57], s[34:35], -v[152:153]
	v_fma_f64 v[154:155], v[58:59], s[36:37], v[154:155]
	v_fma_f64 v[24:25], v[56:57], s[14:15], v[156:157]
	v_fma_f64 v[26:27], v[58:59], s[12:13], v[158:159]
	v_fma_f64 v[156:157], v[56:57], s[14:15], -v[156:157]
	v_fma_f64 v[158:159], v[58:59], s[16:17], v[158:159]
	v_fma_f64 v[206:207], v[56:57], s[2:3], v[160:161]
	v_fma_f64 v[96:97], v[58:59], s[10:11], v[162:163]
	v_fma_f64 v[98:99], v[56:57], s[2:3], -v[160:161]
	v_fma_f64 v[160:161], v[58:59], s[0:1], v[162:163]
	v_fma_f64 v[162:163], v[56:57], s[26:27], v[36:37]
	v_fma_f64 v[36:37], v[56:57], s[26:27], -v[36:37]
	v_fma_f64 v[56:57], v[58:59], s[28:29], v[38:39]
	v_fma_f64 v[38:39], v[58:59], s[24:25], v[38:39]
	v_mul_f64 v[58:59], v[68:69], s[22:23]
	v_add_f64 v[2:3], v[2:3], v[168:169]
	v_mul_f64 v[168:169], v[62:63], s[20:21]
	v_add_f64 v[72:73], v[136:137], v[72:73]
	v_add_f64 v[172:173], v[185:186], v[172:173]
	;; [unrolled: 1-line block ×3, first 2 shown]
	v_mul_f64 v[136:137], v[68:69], s[0:1]
	v_add_f64 v[14:15], v[14:15], v[74:75]
	v_mul_f64 v[74:75], v[62:63], s[2:3]
	v_add_f64 v[176:177], v[189:190], v[176:177]
	v_add_f64 v[178:179], v[191:192], v[178:179]
	;; [unrolled: 1-line block ×7, first 2 shown]
	v_mul_f64 v[10:11], v[68:69], s[30:31]
	v_mul_f64 v[30:31], v[62:63], s[34:35]
	;; [unrolled: 1-line block ×4, first 2 shown]
	v_add_f64 v[18:19], v[197:198], v[18:19]
	v_add_f64 v[134:135], v[199:200], v[134:135]
	;; [unrolled: 1-line block ×9, first 2 shown]
	v_mul_f64 v[80:81], v[90:91], s[10:11]
	v_mul_f64 v[189:190], v[78:79], s[2:3]
	;; [unrolled: 1-line block ×9, first 2 shown]
	v_fma_f64 v[199:200], v[60:61], s[20:21], v[58:59]
	v_add_f64 v[2:3], v[34:35], v[2:3]
	v_fma_f64 v[32:33], v[70:71], s[18:19], v[168:169]
	v_add_f64 v[34:35], v[148:149], v[72:73]
	v_add_f64 v[72:73], v[201:202], v[172:173]
	;; [unrolled: 1-line block ×3, first 2 shown]
	v_fma_f64 v[94:95], v[60:61], s[2:3], -v[136:137]
	v_add_f64 v[14:15], v[150:151], v[14:15]
	v_mul_f64 v[78:79], v[78:79], s[20:21]
	v_add_f64 v[24:25], v[24:25], v[176:177]
	v_add_f64 v[26:27], v[26:27], v[178:179]
	;; [unrolled: 1-line block ×4, first 2 shown]
	v_fma_f64 v[58:59], v[60:61], s[20:21], -v[58:59]
	v_add_f64 v[4:5], v[4:5], v[20:21]
	v_add_f64 v[8:9], v[8:9], v[22:23]
	;; [unrolled: 1-line block ×3, first 2 shown]
	v_fma_f64 v[22:23], v[60:61], s[2:3], v[136:137]
	v_fma_f64 v[52:53], v[70:71], s[10:11], v[74:75]
	;; [unrolled: 1-line block ×6, first 2 shown]
	v_add_f64 v[12:13], v[152:153], v[12:13]
	v_add_f64 v[18:19], v[162:163], v[18:19]
	;; [unrolled: 1-line block ×3, first 2 shown]
	v_fma_f64 v[144:145], v[60:61], s[26:27], v[164:165]
	v_fma_f64 v[164:165], v[60:61], s[26:27], -v[164:165]
	v_fma_f64 v[10:11], v[60:61], s[34:35], -v[10:11]
	;; [unrolled: 1-line block ×3, first 2 shown]
	v_fma_f64 v[62:63], v[70:71], s[16:17], v[62:63]
	v_add_f64 v[28:29], v[36:37], v[28:29]
	v_add_f64 v[0:1], v[38:39], v[0:1]
	v_fma_f64 v[30:31], v[70:71], s[30:31], v[30:31]
	v_add_f64 v[98:99], v[98:99], v[132:133]
	v_add_f64 v[6:7], v[160:161], v[6:7]
	;; [unrolled: 3-line block ×3, first 2 shown]
	v_fma_f64 v[168:169], v[70:71], s[22:23], v[168:169]
	v_add_f64 v[36:37], v[154:155], v[82:83]
	v_fma_f64 v[197:198], v[70:71], s[28:29], v[166:167]
	v_fma_f64 v[166:167], v[70:71], s[24:25], v[166:167]
	;; [unrolled: 1-line block ×3, first 2 shown]
	v_add_f64 v[32:33], v[32:33], v[148:149]
	v_fma_f64 v[82:83], v[76:77], s[26:27], v[191:192]
	v_fma_f64 v[134:135], v[88:89], s[28:29], v[140:141]
	;; [unrolled: 1-line block ×3, first 2 shown]
	v_fma_f64 v[70:71], v[76:77], s[34:35], -v[185:186]
	v_fma_f64 v[80:81], v[76:77], s[2:3], -v[80:81]
	;; [unrolled: 1-line block ×3, first 2 shown]
	v_fma_f64 v[154:155], v[76:77], s[14:15], v[193:194]
	v_add_f64 v[4:5], v[4:5], v[48:49]
	v_add_f64 v[8:9], v[8:9], v[50:51]
	;; [unrolled: 1-line block ×3, first 2 shown]
	v_fma_f64 v[54:55], v[88:89], s[0:1], v[189:190]
	v_add_f64 v[50:51], v[199:200], v[72:73]
	v_add_f64 v[22:23], v[22:23], v[24:25]
	v_add_f64 v[24:25], v[52:53], v[26:27]
	v_fma_f64 v[156:157], v[88:89], s[12:13], v[195:196]
	v_fma_f64 v[158:159], v[76:77], s[14:15], -v[193:194]
	v_fma_f64 v[162:163], v[76:77], s[20:21], v[90:91]
	v_fma_f64 v[90:91], v[76:77], s[20:21], -v[90:91]
	v_add_f64 v[72:73], v[136:137], v[150:151]
	v_add_f64 v[76:77], v[138:139], v[96:97]
	v_fma_f64 v[172:173], v[88:89], s[22:23], v[78:79]
	v_add_f64 v[12:13], v[58:59], v[12:13]
	v_add_f64 v[18:19], v[142:143], v[18:19]
	;; [unrolled: 1-line block ×3, first 2 shown]
	v_fma_f64 v[78:79], v[88:89], s[18:19], v[78:79]
	v_add_f64 v[28:29], v[60:61], v[28:29]
	v_add_f64 v[0:1], v[62:63], v[0:1]
	v_fma_f64 v[160:161], v[88:89], s[16:17], v[195:196]
	v_add_f64 v[10:11], v[10:11], v[98:99]
	v_add_f64 v[6:7], v[30:31], v[6:7]
	;; [unrolled: 3-line block ×3, first 2 shown]
	v_add_f64 v[26:27], v[94:95], v[92:93]
	v_add_f64 v[16:17], v[74:75], v[16:17]
	v_fma_f64 v[132:133], v[88:89], s[10:11], v[189:190]
	v_add_f64 v[30:31], v[168:169], v[36:37]
	v_fma_f64 v[185:186], v[88:89], s[30:31], v[187:188]
	;; [unrolled: 2-line block ×3, first 2 shown]
	v_add_f64 v[4:5], v[4:5], v[46:47]
	v_add_f64 v[8:9], v[8:9], v[42:43]
	;; [unrolled: 1-line block ×25, first 2 shown]
	ds_store_b128 v205, v[50:53] offset:256
	ds_store_b128 v205, v[58:61] offset:384
	;; [unrolled: 1-line block ×9, first 2 shown]
	ds_store_b128 v205, v[92:95]
	ds_store_b128 v205, v[42:45] offset:128
	s_waitcnt lgkmcnt(0)
	s_barrier
	buffer_gl0_inv
	ds_load_b128 v[40:43], v182 offset:1408
	ds_load_b128 v[52:55], v182
	ds_load_b128 v[46:49], v182 offset:14080
	ds_load_b128 v[56:59], v182 offset:2816
	;; [unrolled: 1-line block ×3, first 2 shown]
	s_waitcnt lgkmcnt(2)
	v_mul_f64 v[4:5], v[106:107], v[46:47]
	v_mul_f64 v[0:1], v[66:67], v[42:43]
	;; [unrolled: 1-line block ×3, first 2 shown]
	s_waitcnt lgkmcnt(1)
	v_mul_f64 v[6:7], v[86:87], v[56:57]
	s_waitcnt lgkmcnt(0)
	v_mul_f64 v[8:9], v[102:103], v[60:61]
	v_mul_f64 v[10:11], v[86:87], v[58:59]
	ds_load_b128 v[66:69], v182 offset:4224
	ds_load_b128 v[70:73], v182 offset:11264
	;; [unrolled: 1-line block ×6, first 2 shown]
	v_mul_f64 v[16:17], v[106:107], v[48:49]
	v_mul_f64 v[20:21], v[102:103], v[62:63]
	s_waitcnt lgkmcnt(5)
	v_mul_f64 v[12:13], v[114:115], v[66:67]
	s_waitcnt lgkmcnt(4)
	v_mul_f64 v[14:15], v[122:123], v[70:71]
	v_mul_f64 v[18:19], v[114:115], v[68:69]
	s_waitcnt lgkmcnt(3)
	v_mul_f64 v[26:27], v[110:111], v[74:75]
	s_waitcnt lgkmcnt(1)
	;; [unrolled: 2-line block ×3, first 2 shown]
	v_mul_f64 v[34:35], v[130:131], v[92:93]
	v_mul_f64 v[36:37], v[126:127], v[80:81]
	v_mul_f64 v[22:23], v[110:111], v[76:77]
	v_mul_f64 v[24:25], v[122:123], v[72:73]
	v_mul_f64 v[30:31], v[118:119], v[88:89]
	v_mul_f64 v[32:33], v[130:131], v[94:95]
	v_mul_f64 v[38:39], v[126:127], v[78:79]
	v_fma_f64 v[0:1], v[64:65], v[40:41], v[0:1]
	v_fma_f64 v[2:3], v[64:65], v[42:43], -v[2:3]
	v_fma_f64 v[40:41], v[104:105], v[48:49], -v[4:5]
	;; [unrolled: 1-line block ×4, first 2 shown]
	v_fma_f64 v[6:7], v[84:85], v[56:57], v[10:11]
	v_fma_f64 v[42:43], v[104:105], v[46:47], v[16:17]
	;; [unrolled: 1-line block ×3, first 2 shown]
	v_fma_f64 v[12:13], v[112:113], v[68:69], -v[12:13]
	v_fma_f64 v[48:49], v[120:121], v[72:73], -v[14:15]
	v_fma_f64 v[14:15], v[112:113], v[66:67], v[18:19]
	v_fma_f64 v[18:19], v[108:109], v[76:77], -v[26:27]
	v_fma_f64 v[20:21], v[116:117], v[88:89], v[28:29]
	;; [unrolled: 2-line block ×3, first 2 shown]
	v_fma_f64 v[16:17], v[108:109], v[74:75], v[22:23]
	v_fma_f64 v[50:51], v[120:121], v[70:71], v[24:25]
	v_fma_f64 v[22:23], v[116:117], v[90:91], -v[30:31]
	v_fma_f64 v[24:25], v[128:129], v[92:93], v[32:33]
	v_fma_f64 v[30:31], v[124:125], v[80:81], -v[38:39]
	v_add_f64 v[8:9], v[52:53], v[0:1]
	v_add_f64 v[10:11], v[54:55], v[2:3]
	v_add_f64 v[32:33], v[2:3], -v[40:41]
	v_add_f64 v[2:3], v[2:3], v[40:41]
	v_add_f64 v[34:35], v[4:5], -v[44:45]
	v_add_f64 v[36:37], v[4:5], v[44:45]
	v_add_f64 v[56:57], v[0:1], v[42:43]
	v_add_f64 v[0:1], v[0:1], -v[42:43]
	v_add_f64 v[58:59], v[6:7], v[46:47]
	v_add_f64 v[38:39], v[12:13], v[48:49]
	;; [unrolled: 1-line block ×3, first 2 shown]
	v_add_f64 v[70:71], v[16:17], -v[20:21]
	v_add_f64 v[66:67], v[18:19], v[22:23]
	v_add_f64 v[68:69], v[18:19], -v[22:23]
	v_add_f64 v[74:75], v[26:27], v[30:31]
	v_add_f64 v[60:61], v[14:15], v[50:51]
	v_add_f64 v[62:63], v[14:15], -v[50:51]
	v_add_f64 v[72:73], v[24:25], v[28:29]
	v_add_f64 v[76:77], v[24:25], -v[28:29]
	v_add_f64 v[78:79], v[26:27], -v[30:31]
	v_add_f64 v[8:9], v[8:9], v[6:7]
	v_add_f64 v[4:5], v[10:11], v[4:5]
	v_mul_f64 v[80:81], v[32:33], s[0:1]
	v_mul_f64 v[82:83], v[2:3], s[2:3]
	;; [unrolled: 1-line block ×10, first 2 shown]
	v_add_f64 v[10:11], v[12:13], -v[48:49]
	v_add_f64 v[6:7], v[6:7], -v[46:47]
	v_mul_f64 v[96:97], v[34:35], s[12:13]
	v_mul_f64 v[98:99], v[36:37], s[14:15]
	;; [unrolled: 1-line block ×19, first 2 shown]
	v_add_f64 v[8:9], v[8:9], v[14:15]
	v_add_f64 v[4:5], v[4:5], v[12:13]
	v_mul_f64 v[12:13], v[36:37], s[26:27]
	v_mul_f64 v[14:15], v[34:35], s[36:37]
	v_fma_f64 v[156:157], v[56:57], s[14:15], v[84:85]
	v_fma_f64 v[158:159], v[0:1], s[16:17], v[86:87]
	v_fma_f64 v[84:85], v[56:57], s[14:15], -v[84:85]
	v_fma_f64 v[160:161], v[56:57], s[20:21], v[88:89]
	v_fma_f64 v[162:163], v[0:1], s[22:23], v[90:91]
	v_fma_f64 v[88:89], v[56:57], s[20:21], -v[88:89]
	v_fma_f64 v[164:165], v[56:57], s[26:27], v[92:93]
	v_fma_f64 v[166:167], v[0:1], s[28:29], v[94:95]
	v_mul_f64 v[34:35], v[34:35], s[10:11]
	v_mul_f64 v[36:37], v[36:37], s[2:3]
	v_fma_f64 v[92:93], v[56:57], s[26:27], -v[92:93]
	v_fma_f64 v[168:169], v[56:57], s[34:35], v[32:33]
	v_fma_f64 v[170:171], v[0:1], s[36:37], v[2:3]
	;; [unrolled: 1-line block ×5, first 2 shown]
	v_fma_f64 v[32:33], v[56:57], s[34:35], -v[32:33]
	v_mul_f64 v[108:109], v[10:11], s[18:19]
	v_mul_f64 v[112:113], v[10:11], s[36:37]
	v_fma_f64 v[172:173], v[58:59], s[26:27], v[100:101]
	v_mul_f64 v[116:117], v[10:11], s[16:17]
	v_fma_f64 v[100:101], v[58:59], s[26:27], -v[100:101]
	v_fma_f64 v[178:179], v[6:7], s[30:31], v[102:103]
	v_mul_f64 v[120:121], v[10:11], s[0:1]
	v_fma_f64 v[180:181], v[58:59], s[20:21], v[104:105]
	v_fma_f64 v[183:184], v[6:7], s[18:19], v[106:107]
	v_mul_f64 v[10:11], v[10:11], s[24:25]
	v_fma_f64 v[104:105], v[58:59], s[20:21], -v[104:105]
	v_fma_f64 v[102:103], v[6:7], s[36:37], v[102:103]
	v_fma_f64 v[187:188], v[62:63], s[30:31], v[114:115]
	v_mul_f64 v[134:135], v[66:67], s[2:3]
	v_fma_f64 v[191:192], v[62:63], s[12:13], v[118:119]
	v_mul_f64 v[136:137], v[68:69], s[30:31]
	v_mul_f64 v[138:139], v[66:67], s[34:35]
	v_add_f64 v[8:9], v[8:9], v[16:17]
	v_add_f64 v[4:5], v[4:5], v[18:19]
	v_mul_f64 v[16:17], v[74:75], s[20:21]
	v_fma_f64 v[18:19], v[56:57], s[2:3], v[80:81]
	v_fma_f64 v[74:75], v[0:1], s[10:11], v[82:83]
	v_fma_f64 v[80:81], v[56:57], s[2:3], -v[80:81]
	v_fma_f64 v[82:83], v[0:1], s[0:1], v[82:83]
	v_fma_f64 v[0:1], v[0:1], s[30:31], v[2:3]
	;; [unrolled: 1-line block ×4, first 2 shown]
	v_fma_f64 v[96:97], v[58:59], s[14:15], -v[96:97]
	v_fma_f64 v[98:99], v[6:7], s[12:13], v[98:99]
	v_fma_f64 v[174:175], v[6:7], s[28:29], v[12:13]
	v_add_f64 v[156:157], v[52:53], v[156:157]
	v_add_f64 v[158:159], v[54:55], v[158:159]
	v_fma_f64 v[176:177], v[58:59], s[34:35], v[14:15]
	v_add_f64 v[84:85], v[52:53], v[84:85]
	v_add_f64 v[160:161], v[52:53], v[160:161]
	;; [unrolled: 1-line block ×3, first 2 shown]
	v_fma_f64 v[14:15], v[58:59], s[34:35], -v[14:15]
	v_add_f64 v[88:89], v[52:53], v[88:89]
	v_add_f64 v[164:165], v[52:53], v[164:165]
	v_add_f64 v[166:167], v[54:55], v[166:167]
	v_add_f64 v[92:93], v[52:53], v[92:93]
	v_add_f64 v[168:169], v[52:53], v[168:169]
	v_add_f64 v[170:171], v[54:55], v[170:171]
	v_fma_f64 v[12:13], v[6:7], s[24:25], v[12:13]
	v_add_f64 v[32:33], v[52:53], v[32:33]
	v_add_f64 v[90:91], v[54:55], v[90:91]
	;; [unrolled: 1-line block ×3, first 2 shown]
	v_fma_f64 v[185:186], v[60:61], s[34:35], v[112:113]
	v_fma_f64 v[189:190], v[60:61], s[14:15], v[116:117]
	v_fma_f64 v[116:117], v[60:61], s[14:15], -v[116:117]
	v_mul_f64 v[126:127], v[66:67], s[26:27]
	v_mul_f64 v[68:69], v[68:69], s[16:17]
	;; [unrolled: 1-line block ×3, first 2 shown]
	v_fma_f64 v[112:113], v[60:61], s[34:35], -v[112:113]
	v_fma_f64 v[118:119], v[62:63], s[16:17], v[118:119]
	v_add_f64 v[8:9], v[8:9], v[24:25]
	v_add_f64 v[4:5], v[4:5], v[26:27]
	v_fma_f64 v[24:25], v[6:7], s[22:23], v[106:107]
	v_add_f64 v[18:19], v[52:53], v[18:19]
	v_fma_f64 v[26:27], v[58:59], s[2:3], v[34:35]
	v_add_f64 v[80:81], v[52:53], v[80:81]
	v_add_f64 v[82:83], v[54:55], v[82:83]
	v_fma_f64 v[106:107], v[6:7], s[0:1], v[36:37]
	v_fma_f64 v[34:35], v[58:59], s[2:3], -v[34:35]
	v_fma_f64 v[6:7], v[6:7], s[10:11], v[36:37]
	v_add_f64 v[0:1], v[54:55], v[0:1]
	v_add_f64 v[52:53], v[54:55], v[94:95]
	v_fma_f64 v[36:37], v[60:61], s[20:21], v[108:109]
	v_fma_f64 v[58:59], v[62:63], s[22:23], v[110:111]
	v_fma_f64 v[110:111], v[62:63], s[18:19], v[110:111]
	v_fma_f64 v[108:109], v[60:61], s[20:21], -v[108:109]
	v_add_f64 v[84:85], v[100:101], v[84:85]
	v_fma_f64 v[94:95], v[62:63], s[0:1], v[122:123]
	v_add_f64 v[100:101], v[178:179], v[162:163]
	v_fma_f64 v[114:115], v[62:63], s[36:37], v[114:115]
	v_add_f64 v[14:15], v[14:15], v[88:89]
	v_add_f64 v[88:89], v[180:181], v[164:165]
	v_mul_f64 v[140:141], v[78:79], s[30:31]
	v_add_f64 v[92:93], v[104:105], v[92:93]
	v_mul_f64 v[144:145], v[78:79], s[10:11]
	v_mul_f64 v[148:149], v[78:79], s[24:25]
	;; [unrolled: 1-line block ×4, first 2 shown]
	v_fma_f64 v[193:194], v[64:65], s[20:21], v[128:129]
	v_add_f64 v[12:13], v[12:13], v[86:87]
	v_fma_f64 v[195:196], v[70:71], s[18:19], v[130:131]
	v_fma_f64 v[86:87], v[70:71], s[36:37], v[138:139]
	v_fma_f64 v[128:129], v[64:65], s[20:21], -v[128:129]
	v_fma_f64 v[130:131], v[70:71], s[22:23], v[130:131]
	v_add_f64 v[8:9], v[8:9], v[28:29]
	v_add_f64 v[4:5], v[4:5], v[30:31]
	;; [unrolled: 1-line block ×4, first 2 shown]
	v_fma_f64 v[30:31], v[60:61], s[2:3], v[120:121]
	v_add_f64 v[18:19], v[96:97], v[80:81]
	v_add_f64 v[80:81], v[98:99], v[82:83]
	;; [unrolled: 1-line block ×5, first 2 shown]
	v_fma_f64 v[54:55], v[62:63], s[10:11], v[122:123]
	v_add_f64 v[156:157], v[183:184], v[166:167]
	v_fma_f64 v[74:75], v[60:61], s[2:3], -v[120:121]
	v_fma_f64 v[120:121], v[60:61], s[26:27], v[10:11]
	v_fma_f64 v[122:123], v[62:63], s[28:29], v[38:39]
	v_add_f64 v[26:27], v[26:27], v[168:169]
	v_add_f64 v[104:105], v[106:107], v[170:171]
	v_fma_f64 v[10:11], v[60:61], s[26:27], -v[10:11]
	v_fma_f64 v[38:39], v[62:63], s[24:25], v[38:39]
	v_add_f64 v[32:33], v[34:35], v[32:33]
	v_add_f64 v[0:1], v[6:7], v[0:1]
	;; [unrolled: 1-line block ×4, first 2 shown]
	v_fma_f64 v[60:61], v[64:65], s[26:27], v[124:125]
	v_fma_f64 v[124:125], v[64:65], s[26:27], -v[124:125]
	v_fma_f64 v[34:35], v[64:65], s[2:3], -v[132:133]
	v_add_f64 v[14:15], v[116:117], v[14:15]
	v_fma_f64 v[106:107], v[64:65], s[14:15], v[68:69]
	v_add_f64 v[84:85], v[112:113], v[84:85]
	v_fma_f64 v[90:91], v[64:65], s[34:35], -v[136:137]
	v_fma_f64 v[102:103], v[70:71], s[30:31], v[138:139]
	v_fma_f64 v[52:53], v[70:71], s[0:1], v[134:135]
	v_add_f64 v[12:13], v[114:115], v[12:13]
	v_fma_f64 v[62:63], v[70:71], s[28:29], v[126:127]
	v_fma_f64 v[126:127], v[70:71], s[24:25], v[126:127]
	v_fma_f64 v[114:115], v[72:73], s[14:15], -v[152:153]
	v_fma_f64 v[112:113], v[76:77], s[12:13], v[154:155]
	v_fma_f64 v[116:117], v[76:77], s[16:17], v[154:155]
	v_add_f64 v[8:9], v[8:9], v[20:21]
	v_add_f64 v[4:5], v[4:5], v[22:23]
	;; [unrolled: 1-line block ×4, first 2 shown]
	v_fma_f64 v[22:23], v[64:65], s[2:3], v[132:133]
	v_fma_f64 v[28:29], v[70:71], s[10:11], v[134:135]
	v_add_f64 v[36:37], v[110:111], v[80:81]
	v_add_f64 v[80:81], v[185:186], v[82:83]
	;; [unrolled: 1-line block ×5, first 2 shown]
	v_fma_f64 v[56:57], v[64:65], s[34:35], v[136:137]
	v_add_f64 v[18:19], v[108:109], v[18:19]
	v_add_f64 v[30:31], v[30:31], v[88:89]
	;; [unrolled: 1-line block ×3, first 2 shown]
	v_fma_f64 v[132:133], v[70:71], s[12:13], v[66:67]
	v_add_f64 v[26:27], v[120:121], v[26:27]
	v_add_f64 v[88:89], v[122:123], v[104:105]
	v_fma_f64 v[64:65], v[64:65], s[14:15], -v[68:69]
	v_fma_f64 v[66:67], v[70:71], s[16:17], v[66:67]
	v_add_f64 v[10:11], v[10:11], v[32:33]
	v_add_f64 v[0:1], v[38:39], v[0:1]
	;; [unrolled: 1-line block ×5, first 2 shown]
	v_fma_f64 v[68:69], v[72:73], s[34:35], v[140:141]
	v_fma_f64 v[70:71], v[72:73], s[34:35], -v[140:141]
	v_fma_f64 v[32:33], v[72:73], s[2:3], v[144:145]
	v_fma_f64 v[38:39], v[76:77], s[0:1], v[146:147]
	v_fma_f64 v[94:95], v[72:73], s[26:27], v[148:149]
	v_fma_f64 v[104:105], v[72:73], s[26:27], -v[148:149]
	v_fma_f64 v[110:111], v[72:73], s[14:15], v[152:153]
	v_fma_f64 v[118:119], v[72:73], s[20:21], v[78:79]
	v_fma_f64 v[122:123], v[72:73], s[20:21], -v[78:79]
	v_fma_f64 v[100:101], v[76:77], s[28:29], v[150:151]
	v_add_f64 v[14:15], v[34:35], v[14:15]
	v_fma_f64 v[134:135], v[76:77], s[36:37], v[142:143]
	v_fma_f64 v[136:137], v[76:77], s[30:31], v[142:143]
	v_add_f64 v[8:9], v[8:9], v[50:51]
	v_add_f64 v[4:5], v[4:5], v[48:49]
	;; [unrolled: 1-line block ×3, first 2 shown]
	v_fma_f64 v[58:59], v[72:73], s[2:3], -v[144:145]
	v_add_f64 v[2:3], v[60:61], v[2:3]
	v_fma_f64 v[92:93], v[76:77], s[10:11], v[146:147]
	v_fma_f64 v[108:109], v[76:77], s[24:25], v[150:151]
	v_add_f64 v[60:61], v[193:194], v[80:81]
	v_add_f64 v[72:73], v[195:196], v[82:83]
	v_add_f64 v[22:23], v[22:23], v[96:97]
	v_add_f64 v[28:29], v[28:29], v[98:99]
	v_fma_f64 v[120:121], v[76:77], s[22:23], v[16:17]
	v_add_f64 v[18:19], v[124:125], v[18:19]
	v_add_f64 v[30:31], v[56:57], v[30:31]
	;; [unrolled: 1-line block ×3, first 2 shown]
	v_fma_f64 v[16:17], v[76:77], s[18:19], v[16:17]
	v_add_f64 v[76:77], v[128:129], v[84:85]
	v_add_f64 v[26:27], v[106:107], v[26:27]
	;; [unrolled: 1-line block ×10, first 2 shown]
	s_mul_i32 s1, s5, 0x1e4
	s_mul_hi_u32 s2, s4, 0x1e4
	s_mul_i32 s0, s4, 0x1e4
	s_mul_hi_u32 s3, s4, 0xfffffe74
	s_add_i32 s1, s2, s1
	v_add_f64 v[64:65], v[104:105], v[14:15]
	v_add_f64 v[8:9], v[8:9], v[46:47]
	;; [unrolled: 1-line block ×25, first 2 shown]
	ds_store_b128 v182, v[52:55] offset:2816
	ds_store_b128 v182, v[60:63] offset:4224
	;; [unrolled: 1-line block ×9, first 2 shown]
	ds_store_b128 v182, v[84:87]
	ds_store_b128 v182, v[44:47] offset:1408
	s_waitcnt lgkmcnt(0)
	s_barrier
	buffer_gl0_inv
	ds_load_b128 v[40:43], v182
	ds_load_b128 v[44:47], v182 offset:7744
	scratch_load_b64 v[0:1], off, off offset:24 ; 8-byte Folded Reload
	ds_load_b128 v[48:51], v182 offset:1408
	ds_load_b128 v[52:55], v182 offset:9152
	scratch_load_b32 v39, off, off offset:20 ; 4-byte Folded Reload
	ds_load_b128 v[56:59], v182 offset:2816
	ds_load_b128 v[60:63], v182 offset:10560
	;; [unrolled: 1-line block ×6, first 2 shown]
	s_clause 0x2
	scratch_load_b128 v[88:91], off, off offset:32
	scratch_load_b128 v[100:103], off, off offset:128
	;; [unrolled: 1-line block ×3, first 2 shown]
	s_waitcnt vmcnt(4)
	v_mov_b32_e32 v6, v0
	s_waitcnt vmcnt(3)
	v_mad_u64_u32 v[2:3], null, s4, v39, 0
	s_waitcnt vmcnt(2) lgkmcnt(9)
	v_mul_f64 v[7:8], v[90:91], v[40:41]
	v_mad_u64_u32 v[0:1], null, s6, v6, 0
	s_waitcnt vmcnt(1) lgkmcnt(6)
	v_mul_f64 v[17:18], v[102:103], v[54:55]
	v_mul_f64 v[19:20], v[102:103], v[52:53]
	s_mul_i32 s6, s4, 0xfffffe74
	s_sub_i32 s4, s3, s4
	s_lshl_b64 s[2:3], s[0:1], 4
	s_delay_alu instid0(VALU_DEP_3)
	v_mad_u64_u32 v[4:5], null, s7, v6, v[1:2]
	v_mul_f64 v[5:6], v[90:91], v[42:43]
	scratch_load_b128 v[90:93], off, off offset:56 ; 16-byte Folded Reload
	s_waitcnt vmcnt(1)
	v_mul_f64 v[9:10], v[106:107], v[46:47]
	v_mul_f64 v[11:12], v[106:107], v[44:45]
	scratch_load_b128 v[106:109], off, off offset:160 ; 16-byte Folded Reload
	v_mov_b32_e32 v1, v4
	v_mad_u64_u32 v[86:87], null, s5, v39, v[3:4]
	s_mulk_i32 s5, 0xfe74
	s_delay_alu instid0(VALU_DEP_2) | instskip(SKIP_1) | instid1(SALU_CYCLE_1)
	v_lshlrev_b64 v[0:1], 4, v[0:1]
	s_add_i32 s7, s4, s5
	s_lshl_b64 s[4:5], s[6:7], 4
	s_delay_alu instid0(VALU_DEP_2) | instskip(SKIP_1) | instid1(VALU_DEP_2)
	v_mov_b32_e32 v3, v86
	s_mov_b32 s6, 0x6be69c90
	v_add_co_u32 v86, s0, s8, v0
	s_delay_alu instid0(VALU_DEP_1) | instskip(NEXT) | instid1(VALU_DEP_3)
	v_add_co_ci_u32_e64 v87, s0, s9, v1, s0
	v_lshlrev_b64 v[2:3], 4, v[2:3]
	s_mov_b32 s7, 0x3f50ecf5
	v_fma_f64 v[0:1], v[88:89], v[40:41], v[5:6]
	v_fma_f64 v[4:5], v[88:89], v[42:43], -v[7:8]
	v_fma_f64 v[6:7], v[104:105], v[44:45], v[9:10]
	v_fma_f64 v[8:9], v[104:105], v[46:47], -v[11:12]
	v_add_co_u32 v42, s0, v86, v2
	s_delay_alu instid0(VALU_DEP_1) | instskip(NEXT) | instid1(VALU_DEP_2)
	v_add_co_ci_u32_e64 v43, s0, v87, v3, s0
	v_add_co_u32 v44, s0, v42, s2
	s_delay_alu instid0(VALU_DEP_1) | instskip(NEXT) | instid1(VALU_DEP_2)
	v_add_co_ci_u32_e64 v45, s0, s3, v43, s0
	v_add_co_u32 v46, s0, v44, s4
	s_delay_alu instid0(VALU_DEP_1)
	v_add_co_ci_u32_e64 v47, s0, s5, v45, s0
	v_mul_f64 v[2:3], v[0:1], s[6:7]
	v_mul_f64 v[4:5], v[4:5], s[6:7]
	;; [unrolled: 1-line block ×4, first 2 shown]
	s_waitcnt vmcnt(1)
	v_mul_f64 v[13:14], v[92:93], v[50:51]
	v_mul_f64 v[15:16], v[92:93], v[48:49]
	scratch_load_b128 v[92:95], off, off offset:72 ; 16-byte Folded Reload
	s_waitcnt vmcnt(1) lgkmcnt(2)
	v_mul_f64 v[33:34], v[108:109], v[70:71]
	v_mul_f64 v[35:36], v[108:109], v[68:69]
	scratch_load_b128 v[108:111], off, off offset:176 ; 16-byte Folded Reload
	v_fma_f64 v[10:11], v[90:91], v[48:49], v[13:14]
	v_fma_f64 v[12:13], v[90:91], v[50:51], -v[15:16]
	v_fma_f64 v[14:15], v[100:101], v[52:53], v[17:18]
	v_fma_f64 v[16:17], v[100:101], v[54:55], -v[19:20]
	v_add_co_u32 v48, s0, v46, s2
	s_delay_alu instid0(VALU_DEP_1) | instskip(NEXT) | instid1(VALU_DEP_2)
	v_add_co_ci_u32_e64 v49, s0, s3, v47, s0
	v_add_co_u32 v50, s0, v48, s4
	s_delay_alu instid0(VALU_DEP_1) | instskip(NEXT) | instid1(VALU_DEP_2)
	v_add_co_ci_u32_e64 v51, s0, s5, v49, s0
	;; [unrolled: 3-line block ×3, first 2 shown]
	v_add_co_u32 v54, s0, v52, s4
	s_delay_alu instid0(VALU_DEP_1)
	v_add_co_ci_u32_e64 v55, s0, s5, v53, s0
	v_mul_f64 v[10:11], v[10:11], s[6:7]
	v_mul_f64 v[12:13], v[12:13], s[6:7]
	v_mul_f64 v[14:15], v[14:15], s[6:7]
	v_mul_f64 v[16:17], v[16:17], s[6:7]
	s_waitcnt vmcnt(1)
	v_mul_f64 v[21:22], v[94:95], v[58:59]
	v_mul_f64 v[23:24], v[94:95], v[56:57]
	scratch_load_b128 v[94:97], off, off offset:96 ; 16-byte Folded Reload
	s_waitcnt vmcnt(1) lgkmcnt(1)
	v_mul_f64 v[37:38], v[110:111], v[74:75]
	v_mul_f64 v[80:81], v[110:111], v[72:73]
	scratch_load_b128 v[110:113], off, off offset:192 ; 16-byte Folded Reload
	v_fma_f64 v[18:19], v[92:93], v[56:57], v[21:22]
	v_fma_f64 v[20:21], v[92:93], v[58:59], -v[23:24]
	v_add_co_u32 v56, s0, v54, s2
	s_delay_alu instid0(VALU_DEP_1) | instskip(NEXT) | instid1(VALU_DEP_2)
	v_add_co_ci_u32_e64 v57, s0, s3, v55, s0
	v_add_co_u32 v58, s0, v56, s4
	s_delay_alu instid0(VALU_DEP_1) | instskip(NEXT) | instid1(VALU_DEP_2)
	v_add_co_ci_u32_e64 v59, s0, s5, v57, s0
	v_add_co_u32 v0, s0, v58, s2
	s_delay_alu instid0(VALU_DEP_1)
	v_add_co_ci_u32_e64 v1, s0, s3, v59, s0
	v_mul_f64 v[18:19], v[18:19], s[6:7]
	v_mul_f64 v[20:21], v[20:21], s[6:7]
	s_waitcnt vmcnt(1)
	v_mul_f64 v[25:26], v[96:97], v[62:63]
	v_mul_f64 v[27:28], v[96:97], v[60:61]
	scratch_load_b128 v[96:99], off, off offset:112 ; 16-byte Folded Reload
	s_waitcnt vmcnt(1) lgkmcnt(0)
	v_mul_f64 v[82:83], v[112:113], v[78:79]
	v_mul_f64 v[84:85], v[112:113], v[76:77]
	v_fma_f64 v[22:23], v[94:95], v[60:61], v[25:26]
	v_fma_f64 v[24:25], v[94:95], v[62:63], -v[27:28]
	s_delay_alu instid0(VALU_DEP_3) | instskip(NEXT) | instid1(VALU_DEP_3)
	v_fma_f64 v[40:41], v[110:111], v[78:79], -v[84:85]
	v_mul_f64 v[22:23], v[22:23], s[6:7]
	s_delay_alu instid0(VALU_DEP_3) | instskip(NEXT) | instid1(VALU_DEP_3)
	v_mul_f64 v[24:25], v[24:25], s[6:7]
	v_mul_f64 v[40:41], v[40:41], s[6:7]
	s_waitcnt vmcnt(0)
	v_mul_f64 v[29:30], v[98:99], v[66:67]
	v_mul_f64 v[31:32], v[98:99], v[64:65]
	s_delay_alu instid0(VALU_DEP_2) | instskip(NEXT) | instid1(VALU_DEP_2)
	v_fma_f64 v[26:27], v[96:97], v[64:65], v[29:30]
	v_fma_f64 v[28:29], v[96:97], v[66:67], -v[31:32]
	v_fma_f64 v[30:31], v[106:107], v[68:69], v[33:34]
	v_fma_f64 v[32:33], v[106:107], v[70:71], -v[35:36]
	;; [unrolled: 2-line block ×3, first 2 shown]
	v_fma_f64 v[38:39], v[110:111], v[76:77], v[82:83]
	v_mul_f64 v[26:27], v[26:27], s[6:7]
	v_mul_f64 v[28:29], v[28:29], s[6:7]
	;; [unrolled: 1-line block ×7, first 2 shown]
	s_clause 0x4
	global_store_b128 v[42:43], v[2:5], off
	global_store_b128 v[44:45], v[6:9], off
	;; [unrolled: 1-line block ×10, first 2 shown]
	s_and_b32 exec_lo, exec_lo, vcc_lo
	s_cbranch_execz .LBB0_31
; %bb.30:
	scratch_load_b64 v[2:3], off, off offset:48 ; 8-byte Folded Reload
	v_add_co_u32 v0, vcc_lo, v0, s4
	v_add_co_ci_u32_e32 v1, vcc_lo, s5, v1, vcc_lo
	s_waitcnt vmcnt(0)
	s_clause 0x1
	global_load_b128 v[2:5], v[2:3], off offset:2944
	global_load_b128 v[6:9], v[230:231], off offset:2496
	ds_load_b128 v[10:13], v182 offset:7040
	ds_load_b128 v[14:17], v182 offset:14784
	s_waitcnt vmcnt(1) lgkmcnt(1)
	v_mul_f64 v[18:19], v[12:13], v[4:5]
	v_mul_f64 v[4:5], v[10:11], v[4:5]
	s_waitcnt vmcnt(0) lgkmcnt(0)
	v_mul_f64 v[20:21], v[16:17], v[8:9]
	v_mul_f64 v[8:9], v[14:15], v[8:9]
	s_delay_alu instid0(VALU_DEP_4) | instskip(NEXT) | instid1(VALU_DEP_4)
	v_fma_f64 v[10:11], v[10:11], v[2:3], v[18:19]
	v_fma_f64 v[4:5], v[2:3], v[12:13], -v[4:5]
	s_delay_alu instid0(VALU_DEP_4) | instskip(NEXT) | instid1(VALU_DEP_4)
	v_fma_f64 v[12:13], v[14:15], v[6:7], v[20:21]
	v_fma_f64 v[8:9], v[6:7], v[16:17], -v[8:9]
	s_delay_alu instid0(VALU_DEP_4) | instskip(NEXT) | instid1(VALU_DEP_4)
	v_mul_f64 v[2:3], v[10:11], s[6:7]
	v_mul_f64 v[4:5], v[4:5], s[6:7]
	s_delay_alu instid0(VALU_DEP_4) | instskip(NEXT) | instid1(VALU_DEP_4)
	v_mul_f64 v[6:7], v[12:13], s[6:7]
	v_mul_f64 v[8:9], v[8:9], s[6:7]
	v_add_co_u32 v10, vcc_lo, v0, s2
	v_add_co_ci_u32_e32 v11, vcc_lo, s3, v1, vcc_lo
	global_store_b128 v[0:1], v[2:5], off
	global_store_b128 v[10:11], v[6:9], off
.LBB0_31:
	s_nop 0
	s_sendmsg sendmsg(MSG_DEALLOC_VGPRS)
	s_endpgm
	.section	.rodata,"a",@progbits
	.p2align	6, 0x0
	.amdhsa_kernel bluestein_single_fwd_len968_dim1_dp_op_CI_CI
		.amdhsa_group_segment_fixed_size 30976
		.amdhsa_private_segment_fixed_size 344
		.amdhsa_kernarg_size 104
		.amdhsa_user_sgpr_count 15
		.amdhsa_user_sgpr_dispatch_ptr 0
		.amdhsa_user_sgpr_queue_ptr 0
		.amdhsa_user_sgpr_kernarg_segment_ptr 1
		.amdhsa_user_sgpr_dispatch_id 0
		.amdhsa_user_sgpr_private_segment_size 0
		.amdhsa_wavefront_size32 1
		.amdhsa_uses_dynamic_stack 0
		.amdhsa_enable_private_segment 1
		.amdhsa_system_sgpr_workgroup_id_x 1
		.amdhsa_system_sgpr_workgroup_id_y 0
		.amdhsa_system_sgpr_workgroup_id_z 0
		.amdhsa_system_sgpr_workgroup_info 0
		.amdhsa_system_vgpr_workitem_id 0
		.amdhsa_next_free_vgpr 256
		.amdhsa_next_free_sgpr 38
		.amdhsa_reserve_vcc 1
		.amdhsa_float_round_mode_32 0
		.amdhsa_float_round_mode_16_64 0
		.amdhsa_float_denorm_mode_32 3
		.amdhsa_float_denorm_mode_16_64 3
		.amdhsa_dx10_clamp 1
		.amdhsa_ieee_mode 1
		.amdhsa_fp16_overflow 0
		.amdhsa_workgroup_processor_mode 1
		.amdhsa_memory_ordered 1
		.amdhsa_forward_progress 0
		.amdhsa_shared_vgpr_count 0
		.amdhsa_exception_fp_ieee_invalid_op 0
		.amdhsa_exception_fp_denorm_src 0
		.amdhsa_exception_fp_ieee_div_zero 0
		.amdhsa_exception_fp_ieee_overflow 0
		.amdhsa_exception_fp_ieee_underflow 0
		.amdhsa_exception_fp_ieee_inexact 0
		.amdhsa_exception_int_div_zero 0
	.end_amdhsa_kernel
	.text
.Lfunc_end0:
	.size	bluestein_single_fwd_len968_dim1_dp_op_CI_CI, .Lfunc_end0-bluestein_single_fwd_len968_dim1_dp_op_CI_CI
                                        ; -- End function
	.section	.AMDGPU.csdata,"",@progbits
; Kernel info:
; codeLenInByte = 21116
; NumSgprs: 40
; NumVgprs: 256
; ScratchSize: 344
; MemoryBound: 0
; FloatMode: 240
; IeeeMode: 1
; LDSByteSize: 30976 bytes/workgroup (compile time only)
; SGPRBlocks: 4
; VGPRBlocks: 31
; NumSGPRsForWavesPerEU: 40
; NumVGPRsForWavesPerEU: 256
; Occupancy: 5
; WaveLimiterHint : 1
; COMPUTE_PGM_RSRC2:SCRATCH_EN: 1
; COMPUTE_PGM_RSRC2:USER_SGPR: 15
; COMPUTE_PGM_RSRC2:TRAP_HANDLER: 0
; COMPUTE_PGM_RSRC2:TGID_X_EN: 1
; COMPUTE_PGM_RSRC2:TGID_Y_EN: 0
; COMPUTE_PGM_RSRC2:TGID_Z_EN: 0
; COMPUTE_PGM_RSRC2:TIDIG_COMP_CNT: 0
	.text
	.p2alignl 7, 3214868480
	.fill 96, 4, 3214868480
	.type	__hip_cuid_1286f3683a6e0f1d,@object ; @__hip_cuid_1286f3683a6e0f1d
	.section	.bss,"aw",@nobits
	.globl	__hip_cuid_1286f3683a6e0f1d
__hip_cuid_1286f3683a6e0f1d:
	.byte	0                               ; 0x0
	.size	__hip_cuid_1286f3683a6e0f1d, 1

	.ident	"AMD clang version 19.0.0git (https://github.com/RadeonOpenCompute/llvm-project roc-6.4.0 25133 c7fe45cf4b819c5991fe208aaa96edf142730f1d)"
	.section	".note.GNU-stack","",@progbits
	.addrsig
	.addrsig_sym __hip_cuid_1286f3683a6e0f1d
	.amdgpu_metadata
---
amdhsa.kernels:
  - .args:
      - .actual_access:  read_only
        .address_space:  global
        .offset:         0
        .size:           8
        .value_kind:     global_buffer
      - .actual_access:  read_only
        .address_space:  global
        .offset:         8
        .size:           8
        .value_kind:     global_buffer
      - .actual_access:  read_only
        .address_space:  global
        .offset:         16
        .size:           8
        .value_kind:     global_buffer
      - .actual_access:  read_only
        .address_space:  global
        .offset:         24
        .size:           8
        .value_kind:     global_buffer
      - .actual_access:  read_only
        .address_space:  global
        .offset:         32
        .size:           8
        .value_kind:     global_buffer
      - .offset:         40
        .size:           8
        .value_kind:     by_value
      - .address_space:  global
        .offset:         48
        .size:           8
        .value_kind:     global_buffer
      - .address_space:  global
        .offset:         56
        .size:           8
        .value_kind:     global_buffer
      - .address_space:  global
        .offset:         64
        .size:           8
        .value_kind:     global_buffer
      - .address_space:  global
        .offset:         72
        .size:           8
        .value_kind:     global_buffer
      - .offset:         80
        .size:           4
        .value_kind:     by_value
      - .address_space:  global
        .offset:         88
        .size:           8
        .value_kind:     global_buffer
      - .address_space:  global
        .offset:         96
        .size:           8
        .value_kind:     global_buffer
    .group_segment_fixed_size: 30976
    .kernarg_segment_align: 8
    .kernarg_segment_size: 104
    .language:       OpenCL C
    .language_version:
      - 2
      - 0
    .max_flat_workgroup_size: 176
    .name:           bluestein_single_fwd_len968_dim1_dp_op_CI_CI
    .private_segment_fixed_size: 344
    .sgpr_count:     40
    .sgpr_spill_count: 0
    .symbol:         bluestein_single_fwd_len968_dim1_dp_op_CI_CI.kd
    .uniform_work_group_size: 1
    .uses_dynamic_stack: false
    .vgpr_count:     256
    .vgpr_spill_count: 89
    .wavefront_size: 32
    .workgroup_processor_mode: 1
amdhsa.target:   amdgcn-amd-amdhsa--gfx1100
amdhsa.version:
  - 1
  - 2
...

	.end_amdgpu_metadata
